;; amdgpu-corpus repo=ROCm/rocFFT kind=compiled arch=gfx1030 opt=O3
	.text
	.amdgcn_target "amdgcn-amd-amdhsa--gfx1030"
	.amdhsa_code_object_version 6
	.protected	bluestein_single_fwd_len1134_dim1_dp_op_CI_CI ; -- Begin function bluestein_single_fwd_len1134_dim1_dp_op_CI_CI
	.globl	bluestein_single_fwd_len1134_dim1_dp_op_CI_CI
	.p2align	8
	.type	bluestein_single_fwd_len1134_dim1_dp_op_CI_CI,@function
bluestein_single_fwd_len1134_dim1_dp_op_CI_CI: ; @bluestein_single_fwd_len1134_dim1_dp_op_CI_CI
; %bb.0:
	s_load_dwordx4 s[8:11], s[4:5], 0x28
	v_mul_u32_u24_e32 v1, 0x209, v0
	s_mov_b64 s[30:31], s[2:3]
	s_mov_b64 s[28:29], s[0:1]
	v_mov_b32_e32 v21, 0
	s_add_u32 s28, s28, s7
	v_lshrrev_b32_e32 v1, 16, v1
	s_addc_u32 s29, s29, 0
	s_mov_b32 s0, exec_lo
	v_add_nc_u32_e32 v20, s6, v1
	s_waitcnt lgkmcnt(0)
	v_cmpx_gt_u64_e64 s[8:9], v[20:21]
	s_cbranch_execz .LBB0_23
; %bb.1:
	s_clause 0x1
	s_load_dwordx4 s[0:3], s[4:5], 0x18
	s_load_dwordx2 s[6:7], s[4:5], 0x0
	v_mul_lo_u16 v1, 0x7e, v1
	v_mov_b32_e32 v21, v20
	v_sub_nc_u16 v98, v0, v1
	v_and_b32_e32 v226, 0xffff, v98
	v_lshlrev_b32_e32 v223, 4, v226
	s_waitcnt lgkmcnt(0)
	s_load_dwordx4 s[12:15], s[0:1], 0x0
	s_clause 0x1
	global_load_dwordx4 v[0:3], v223, s[6:7]
	global_load_dwordx4 v[4:7], v223, s[6:7] offset:2016
	v_add_co_u32 v224, s0, s6, v223
	v_add_co_ci_u32_e64 v225, null, s7, 0, s0
	buffer_store_dword v21, off, s[28:31], 0 ; 4-byte Folded Spill
	buffer_store_dword v22, off, s[28:31], 0 offset:4 ; 4-byte Folded Spill
	v_add_co_u32 v8, vcc_lo, 0x2000, v224
	v_add_co_ci_u32_e32 v9, vcc_lo, 0, v225, vcc_lo
	v_add_co_u32 v10, vcc_lo, 0x2800, v224
	v_add_co_ci_u32_e32 v11, vcc_lo, 0, v225, vcc_lo
	v_add_co_u32 v14, vcc_lo, 0x800, v224
	v_add_co_ci_u32_e32 v15, vcc_lo, 0, v225, vcc_lo
	s_waitcnt lgkmcnt(0)
	v_mad_u64_u32 v[12:13], null, s14, v20, 0
	v_mad_u64_u32 v[16:17], null, s12, v226, 0
	v_add_co_u32 v18, vcc_lo, 0x3000, v224
	v_add_co_ci_u32_e32 v19, vcc_lo, 0, v225, vcc_lo
	v_mad_u64_u32 v[26:27], null, s15, v20, v[13:14]
	v_mad_u64_u32 v[30:31], null, s13, v226, v[17:18]
	v_add_co_u32 v24, vcc_lo, 0x1000, v224
	v_add_co_ci_u32_e32 v25, vcc_lo, 0, v225, vcc_lo
	v_mov_b32_e32 v13, v26
	v_add_co_u32 v28, vcc_lo, 0x3800, v224
	v_mov_b32_e32 v17, v30
	v_add_co_ci_u32_e32 v29, vcc_lo, 0, v225, vcc_lo
	v_lshlrev_b64 v[12:13], 4, v[12:13]
	s_mul_i32 s1, s13, 0x237
	v_lshlrev_b64 v[16:17], 4, v[16:17]
	s_mul_hi_u32 s7, s12, 0x237
	s_mul_i32 s0, s12, 0x237
	s_mul_hi_u32 s9, s12, 0xfffffe47
	v_add_co_u32 v12, vcc_lo, s10, v12
	v_add_co_ci_u32_e32 v13, vcc_lo, s11, v13, vcc_lo
	s_add_i32 s1, s7, s1
	v_add_co_u32 v26, vcc_lo, v12, v16
	v_add_co_ci_u32_e32 v27, vcc_lo, v13, v17, vcc_lo
	s_mul_i32 s8, s13, 0xfffffe47
	s_mul_i32 s6, s12, 0xfffffe47
	s_sub_i32 s7, s9, s12
	s_lshl_b64 s[12:13], s[0:1], 4
	s_add_i32 s7, s7, s8
	v_add_co_u32 v30, vcc_lo, v26, s12
	v_add_co_ci_u32_e32 v31, vcc_lo, s13, v27, vcc_lo
	s_lshl_b64 s[0:1], s[6:7], 4
	s_clause 0x1
	global_load_dwordx4 v[20:23], v[8:9], off offset:880
	global_load_dwordx4 v[12:15], v[14:15], off offset:1984
	v_add_co_u32 v32, vcc_lo, v30, s0
	v_add_co_ci_u32_e32 v33, vcc_lo, s1, v31, vcc_lo
	s_clause 0x1
	global_load_dwordx4 v[8:11], v[10:11], off offset:848
	global_load_dwordx4 v[16:19], v[18:19], off offset:816
	v_add_co_u32 v46, vcc_lo, v32, s12
	v_add_co_ci_u32_e32 v47, vcc_lo, s13, v33, vcc_lo
	s_clause 0x1
	global_load_dwordx4 v[34:37], v[26:27], off
	global_load_dwordx4 v[38:41], v[30:31], off
	v_add_co_u32 v50, vcc_lo, v46, s0
	v_add_co_ci_u32_e32 v51, vcc_lo, s1, v47, vcc_lo
	s_clause 0x1
	global_load_dwordx4 v[42:45], v[32:33], off
	global_load_dwordx4 v[46:49], v[46:47], off
	v_add_co_u32 v26, vcc_lo, v50, s12
	v_add_co_ci_u32_e32 v27, vcc_lo, s13, v51, vcc_lo
	global_load_dwordx4 v[50:53], v[50:51], off
	v_add_co_u32 v30, vcc_lo, v26, s0
	v_add_co_ci_u32_e32 v31, vcc_lo, s1, v27, vcc_lo
	v_add_co_u32 v32, vcc_lo, v30, s12
	v_add_co_ci_u32_e32 v33, vcc_lo, s13, v31, vcc_lo
	global_load_dwordx4 v[54:57], v[26:27], off
	global_load_dwordx4 v[58:61], v[30:31], off
	s_clause 0x1
	global_load_dwordx4 v[24:27], v[24:25], off offset:1952
	global_load_dwordx4 v[28:31], v[28:29], off offset:784
	global_load_dwordx4 v[62:65], v[32:33], off
	s_load_dwordx2 s[6:7], s[4:5], 0x38
	s_load_dwordx4 s[8:11], s[2:3], 0x0
	v_cmp_gt_u16_e32 vcc_lo, 63, v98
	s_waitcnt vmcnt(9)
	v_mul_f64 v[66:67], v[36:37], v[2:3]
	v_mul_f64 v[68:69], v[34:35], v[2:3]
	s_waitcnt vmcnt(8)
	v_mul_f64 v[70:71], v[40:41], v[22:23]
	v_mul_f64 v[72:73], v[38:39], v[22:23]
	;; [unrolled: 3-line block ×8, first 2 shown]
	v_fma_f64 v[34:35], v[34:35], v[0:1], v[66:67]
	v_fma_f64 v[36:37], v[36:37], v[0:1], -v[68:69]
	v_fma_f64 v[38:39], v[38:39], v[20:21], v[70:71]
	v_fma_f64 v[40:41], v[40:41], v[20:21], -v[72:73]
	;; [unrolled: 2-line block ×4, first 2 shown]
	ds_write_b128 v223, v[34:37]
	ds_write_b128 v223, v[38:41] offset:9072
	ds_write_b128 v223, v[42:45] offset:2016
	;; [unrolled: 1-line block ×3, first 2 shown]
	v_fma_f64 v[50:51], v[50:51], v[12:13], v[82:83]
	v_fma_f64 v[52:53], v[52:53], v[12:13], -v[84:85]
	v_fma_f64 v[54:55], v[54:55], v[16:17], v[86:87]
	v_fma_f64 v[56:57], v[56:57], v[16:17], -v[88:89]
	v_fma_f64 v[58:59], v[58:59], v[24:25], v[90:91]
	v_fma_f64 v[60:61], v[60:61], v[24:25], -v[92:93]
	v_fma_f64 v[62:63], v[62:63], v[28:29], v[94:95]
	v_fma_f64 v[64:65], v[64:65], v[28:29], -v[96:97]
	ds_write_b128 v223, v[50:53] offset:4032
	ds_write_b128 v223, v[54:57] offset:13104
	;; [unrolled: 1-line block ×4, first 2 shown]
	s_and_saveexec_b32 s2, vcc_lo
	s_cbranch_execz .LBB0_3
; %bb.2:
	v_add_co_u32 v32, s0, v32, s0
	v_add_co_ci_u32_e64 v33, s0, s1, v33, s0
	v_add_co_u32 v36, s0, 0x1800, v224
	v_add_co_ci_u32_e64 v37, s0, 0, v225, s0
	;; [unrolled: 2-line block ×4, first 2 shown]
	global_load_dwordx4 v[32:35], v[32:33], off
	s_clause 0x1
	global_load_dwordx4 v[36:39], v[36:37], off offset:1920
	global_load_dwordx4 v[40:43], v[40:41], off offset:752
	global_load_dwordx4 v[44:47], v[44:45], off
	s_waitcnt vmcnt(2)
	v_mul_f64 v[48:49], v[34:35], v[38:39]
	v_mul_f64 v[38:39], v[32:33], v[38:39]
	s_waitcnt vmcnt(0)
	v_mul_f64 v[50:51], v[46:47], v[42:43]
	v_mul_f64 v[42:43], v[44:45], v[42:43]
	v_fma_f64 v[32:33], v[32:33], v[36:37], v[48:49]
	v_fma_f64 v[34:35], v[34:35], v[36:37], -v[38:39]
	v_fma_f64 v[36:37], v[44:45], v[40:41], v[50:51]
	v_fma_f64 v[38:39], v[46:47], v[40:41], -v[42:43]
	ds_write_b128 v223, v[32:35] offset:8064
	ds_write_b128 v223, v[36:39] offset:17136
.LBB0_3:
	s_or_b32 exec_lo, exec_lo, s2
	s_waitcnt lgkmcnt(0)
	s_waitcnt_vscnt null, 0x0
	s_barrier
	buffer_gl0_inv
	ds_read_b128 v[36:39], v223
	ds_read_b128 v[40:43], v223 offset:2016
	ds_read_b128 v[68:71], v223 offset:9072
	;; [unrolled: 1-line block ×7, first 2 shown]
	s_load_dwordx2 s[2:3], s[4:5], 0x8
                                        ; implicit-def: $vgpr32_vgpr33
                                        ; implicit-def: $vgpr56_vgpr57
	s_and_saveexec_b32 s0, vcc_lo
	s_cbranch_execz .LBB0_5
; %bb.4:
	ds_read_b128 v[32:35], v223 offset:8064
	ds_read_b128 v[56:59], v223 offset:17136
.LBB0_5:
	s_or_b32 exec_lo, exec_lo, s0
	s_waitcnt lgkmcnt(0)
	v_add_f64 v[68:69], v[36:37], -v[68:69]
	v_add_f64 v[70:71], v[38:39], -v[70:71]
	;; [unrolled: 1-line block ×10, first 2 shown]
	v_add_co_u32 v184, s0, 0x7e, v226
	v_add_co_ci_u32_e64 v72, null, 0, 0, s0
	v_add_co_u32 v89, s0, 0xfc, v226
	v_add_co_ci_u32_e64 v56, null, 0, 0, s0
	v_lshlrev_b16 v56, 1, v226
	v_mov_b32_e32 v88, 4
	v_add_co_u32 v57, null, 0x1f8, v226
	v_fma_f64 v[36:37], v[36:37], 2.0, -v[68:69]
	v_fma_f64 v[38:39], v[38:39], 2.0, -v[70:71]
	;; [unrolled: 1-line block ×8, first 2 shown]
	v_lshlrev_b32_e32 v231, 5, v226
	v_lshlrev_b32_sdwa v227, v88, v56 dst_sel:DWORD dst_unused:UNUSED_PAD src0_sel:DWORD src1_sel:WORD_0
	v_lshlrev_b32_e32 v229, 5, v184
	v_lshlrev_b32_e32 v230, 5, v89
	v_lshlrev_b32_e32 v228, 5, v57
	s_barrier
	buffer_gl0_inv
	ds_write_b128 v227, v[68:71] offset:16
	ds_write_b128 v229, v[64:67] offset:16
	;; [unrolled: 1-line block ×3, first 2 shown]
	ds_write_b128 v227, v[36:39]
	ds_write_b128 v229, v[40:43]
	;; [unrolled: 1-line block ×3, first 2 shown]
	ds_write_b128 v231, v[48:51] offset:12096
	ds_write_b128 v231, v[52:55] offset:12112
	s_and_saveexec_b32 s0, vcc_lo
	s_cbranch_execz .LBB0_7
; %bb.6:
	v_fma_f64 v[34:35], v[34:35], 2.0, -v[130:131]
	v_fma_f64 v[32:33], v[32:33], 2.0, -v[128:129]
	ds_write_b128 v228, v[32:35]
	ds_write_b128 v228, v[128:131] offset:16
.LBB0_7:
	s_or_b32 exec_lo, exec_lo, s0
	v_and_b32_e32 v40, 1, v226
	s_waitcnt lgkmcnt(0)
	s_barrier
	buffer_gl0_inv
	s_mov_b32 s0, 0xe8584caa
	v_lshlrev_b32_e32 v32, 5, v40
	s_mov_b32 s1, 0x3febb67a
	s_mov_b32 s5, 0xbfebb67a
	;; [unrolled: 1-line block ×3, first 2 shown]
	v_mov_b32_e32 v168, 54
	s_clause 0x1
	global_load_dwordx4 v[36:39], v32, s[2:3]
	global_load_dwordx4 v[32:35], v32, s[2:3] offset:16
	ds_read_b128 v[41:44], v223 offset:6048
	ds_read_b128 v[45:48], v223 offset:12096
	;; [unrolled: 1-line block ×7, first 2 shown]
	ds_read_b128 v[71:74], v223
	ds_read_b128 v[75:78], v223 offset:2016
	s_waitcnt vmcnt(0) lgkmcnt(0)
	s_barrier
	buffer_gl0_inv
	v_mul_f64 v[65:66], v[43:44], v[38:39]
	v_mul_f64 v[79:80], v[47:48], v[34:35]
	v_mul_f64 v[81:82], v[41:42], v[38:39]
	v_mul_f64 v[83:84], v[45:46], v[34:35]
	v_mul_f64 v[85:86], v[51:52], v[38:39]
	v_mul_f64 v[90:91], v[55:56], v[34:35]
	v_mul_f64 v[92:93], v[49:50], v[38:39]
	v_mul_f64 v[94:95], v[53:54], v[34:35]
	v_mul_f64 v[96:97], v[59:60], v[38:39]
	v_mul_f64 v[98:99], v[63:64], v[34:35]
	v_mul_f64 v[100:101], v[57:58], v[38:39]
	v_mul_f64 v[102:103], v[61:62], v[34:35]
	v_fma_f64 v[41:42], v[41:42], v[36:37], -v[65:66]
	v_fma_f64 v[45:46], v[45:46], v[32:33], -v[79:80]
	v_fma_f64 v[43:44], v[43:44], v[36:37], v[81:82]
	v_fma_f64 v[47:48], v[47:48], v[32:33], v[83:84]
	v_fma_f64 v[49:50], v[49:50], v[36:37], -v[85:86]
	v_fma_f64 v[53:54], v[53:54], v[32:33], -v[90:91]
	v_fma_f64 v[51:52], v[51:52], v[36:37], v[92:93]
	v_fma_f64 v[55:56], v[55:56], v[32:33], v[94:95]
	v_fma_f64 v[57:58], v[57:58], v[36:37], -v[96:97]
	v_fma_f64 v[61:62], v[61:62], v[32:33], -v[98:99]
	v_fma_f64 v[59:60], v[59:60], v[36:37], v[100:101]
	v_fma_f64 v[79:80], v[63:64], v[32:33], v[102:103]
	v_lshrrev_b32_e32 v64, 1, v184
	v_and_b32_e32 v90, 0xff, v226
	v_and_b32_e32 v91, 0xff, v184
	v_mov_b32_e32 v66, 0xaaab
	v_lshrrev_b32_e32 v65, 1, v89
	v_mul_u32_u24_e32 v87, 6, v64
	v_mul_lo_u16 v64, 0xab, v90
	v_mul_lo_u16 v98, 0xab, v91
	v_mul_u32_u24_sdwa v66, v89, v66 dst_sel:DWORD dst_unused:UNUSED_PAD src0_sel:WORD_0 src1_sel:DWORD
	v_mul_u32_u24_e32 v110, 6, v65
	v_lshrrev_b32_e32 v63, 1, v226
	v_add_f64 v[81:82], v[41:42], v[45:46]
	v_lshrrev_b16 v65, 10, v64
	v_add_f64 v[83:84], v[43:44], v[47:48]
	v_lshrrev_b32_e32 v64, 18, v66
	v_add_f64 v[85:86], v[49:50], v[53:54]
	v_lshrrev_b16 v66, 10, v98
	v_add_f64 v[92:93], v[51:52], v[55:56]
	v_add_f64 v[98:99], v[71:72], v[41:42]
	;; [unrolled: 1-line block ×3, first 2 shown]
	v_add_f64 v[100:101], v[43:44], -v[47:48]
	v_add_f64 v[96:97], v[59:60], v[79:80]
	v_add_f64 v[43:44], v[73:74], v[43:44]
	;; [unrolled: 1-line block ×6, first 2 shown]
	v_mul_u32_u24_e32 v63, 6, v63
	v_mul_lo_u16 v111, v64, 6
	v_mul_lo_u16 v112, v66, 6
	v_or_b32_e32 v87, v87, v40
	v_or_b32_e32 v63, v63, v40
	v_fma_f64 v[71:72], v[81:82], -0.5, v[71:72]
	v_add_f64 v[81:82], v[41:42], -v[45:46]
	v_fma_f64 v[73:74], v[83:84], -0.5, v[73:74]
	v_add_f64 v[83:84], v[51:52], -v[55:56]
	;; [unrolled: 2-line block ×5, first 2 shown]
	v_fma_f64 v[96:97], v[96:97], -0.5, v[69:70]
	v_add_f64 v[41:42], v[98:99], v[45:46]
	v_add_f64 v[43:44], v[43:44], v[47:48]
	;; [unrolled: 1-line block ×4, first 2 shown]
	v_mul_lo_u16 v69, v65, 6
	v_add_f64 v[49:50], v[106:107], v[61:62]
	v_add_f64 v[51:52], v[108:109], v[79:80]
	v_sub_nc_u16 v62, v184, v112
	v_or_b32_e32 v40, v110, v40
	v_sub_nc_u16 v61, v226, v69
	v_lshlrev_b32_e32 v216, 4, v87
	v_fma_f64 v[53:54], v[100:101], s[0:1], v[71:72]
	v_fma_f64 v[57:58], v[100:101], s[4:5], v[71:72]
	v_fma_f64 v[55:56], v[81:82], s[4:5], v[73:74]
	v_fma_f64 v[59:60], v[81:82], s[0:1], v[73:74]
	v_fma_f64 v[70:71], v[83:84], s[0:1], v[75:76]
	v_fma_f64 v[74:75], v[83:84], s[4:5], v[75:76]
	v_fma_f64 v[72:73], v[85:86], s[4:5], v[77:78]
	v_fma_f64 v[76:77], v[85:86], s[0:1], v[77:78]
	v_fma_f64 v[82:83], v[92:93], s[4:5], v[67:68]
	v_fma_f64 v[78:79], v[92:93], s[0:1], v[67:68]
	v_fma_f64 v[84:85], v[94:95], s[0:1], v[96:97]
	v_fma_f64 v[80:81], v[94:95], s[4:5], v[96:97]
	v_sub_nc_u16 v67, v89, v111
	v_lshlrev_b32_e32 v92, 4, v63
	v_and_b32_e32 v68, 0xff, v61
	v_and_b32_e32 v69, 0xff, v62
	v_lshlrev_b32_e32 v86, 4, v40
	v_lshlrev_b16 v63, 5, v67
	v_mad_u16 v64, v64, 18, v67
	v_lshlrev_b32_e32 v40, 5, v68
	v_lshlrev_b32_e32 v62, 5, v69
	ds_write_b128 v92, v[41:44]
	ds_write_b128 v92, v[53:56] offset:32
	v_and_b32_e32 v61, 0xffff, v63
	buffer_store_dword v92, off, s[28:31], 0 offset:12 ; 4-byte Folded Spill
	ds_write_b128 v92, v[57:60] offset:64
	ds_write_b128 v216, v[45:48]
	ds_write_b128 v216, v[70:73] offset:32
	ds_write_b128 v216, v[74:77] offset:64
	ds_write_b128 v86, v[49:52]
	ds_write_b128 v86, v[78:81] offset:32
	buffer_store_dword v86, off, s[28:31], 0 offset:8 ; 4-byte Folded Spill
	v_add_co_u32 v56, s12, s2, v61
	ds_write_b128 v86, v[82:85] offset:64
	s_waitcnt lgkmcnt(0)
	s_waitcnt_vscnt null, 0x0
	s_barrier
	buffer_gl0_inv
	s_clause 0x1
	global_load_dwordx4 v[44:47], v40, s[2:3] offset:64
	global_load_dwordx4 v[40:43], v40, s[2:3] offset:80
	v_add_co_ci_u32_e64 v57, null, s3, 0, s12
	s_clause 0x3
	global_load_dwordx4 v[52:55], v62, s[2:3] offset:64
	global_load_dwordx4 v[48:51], v62, s[2:3] offset:80
	global_load_dwordx4 v[60:63], v[56:57], off offset:64
	global_load_dwordx4 v[56:59], v[56:57], off offset:80
	ds_read_b128 v[70:73], v223 offset:6048
	ds_read_b128 v[74:77], v223 offset:12096
	;; [unrolled: 1-line block ×7, first 2 shown]
	v_lshlrev_b32_sdwa v235, v88, v64 dst_sel:DWORD dst_unused:UNUSED_PAD src0_sel:DWORD src1_sel:WORD_0
	s_waitcnt vmcnt(5) lgkmcnt(6)
	v_mul_f64 v[86:87], v[72:73], v[46:47]
	s_waitcnt vmcnt(4) lgkmcnt(5)
	v_mul_f64 v[104:105], v[76:77], v[42:43]
	v_mul_f64 v[106:107], v[70:71], v[46:47]
	v_mul_f64 v[108:109], v[74:75], v[42:43]
	s_waitcnt vmcnt(3) lgkmcnt(4)
	v_mul_f64 v[110:111], v[80:81], v[54:55]
	s_waitcnt vmcnt(2) lgkmcnt(3)
	v_mul_f64 v[112:113], v[84:85], v[50:51]
	v_mul_f64 v[114:115], v[78:79], v[54:55]
	v_mul_f64 v[116:117], v[82:83], v[50:51]
	;; [unrolled: 6-line block ×3, first 2 shown]
	v_fma_f64 v[86:87], v[70:71], v[44:45], -v[86:87]
	v_fma_f64 v[104:105], v[74:75], v[40:41], -v[104:105]
	v_fma_f64 v[106:107], v[72:73], v[44:45], v[106:107]
	v_fma_f64 v[108:109], v[76:77], v[40:41], v[108:109]
	v_fma_f64 v[78:79], v[78:79], v[52:53], -v[110:111]
	v_fma_f64 v[82:83], v[82:83], v[48:49], -v[112:113]
	v_fma_f64 v[80:81], v[80:81], v[52:53], v[114:115]
	v_fma_f64 v[84:85], v[84:85], v[48:49], v[116:117]
	;; [unrolled: 4-line block ×3, first 2 shown]
	ds_read_b128 v[70:73], v223
	ds_read_b128 v[74:77], v223 offset:2016
	v_mov_b32_e32 v92, 0xe38f
	v_mul_lo_u16 v93, v90, 57
	v_mul_lo_u16 v94, v91, 57
	v_mov_b32_e32 v95, 18
	s_waitcnt lgkmcnt(0)
	v_mul_u32_u24_sdwa v92, v89, v92 dst_sel:DWORD dst_unused:UNUSED_PAD src0_sel:WORD_0 src1_sel:DWORD
	v_lshrrev_b16 v93, 10, v93
	v_lshrrev_b16 v94, 10, v94
	v_mul_u32_u24_sdwa v65, v65, v95 dst_sel:DWORD dst_unused:UNUSED_PAD src0_sel:WORD_0 src1_sel:DWORD
	v_mul_u32_u24_sdwa v66, v66, v95 dst_sel:DWORD dst_unused:UNUSED_PAD src0_sel:WORD_0 src1_sel:DWORD
	v_add_f64 v[114:115], v[86:87], v[104:105]
	v_lshrrev_b32_e32 v92, 20, v92
	v_add_f64 v[116:117], v[106:107], v[108:109]
	v_add_f64 v[132:133], v[106:107], -v[108:109]
	v_add_f64 v[118:119], v[78:79], v[82:83]
	v_add_f64 v[144:145], v[78:79], -v[82:83]
	;; [unrolled: 2-line block ×3, first 2 shown]
	v_add_f64 v[122:123], v[110:111], v[96:97]
	v_add_f64 v[126:127], v[70:71], v[86:87]
	;; [unrolled: 1-line block ×6, first 2 shown]
	v_add_f64 v[86:87], v[86:87], -v[104:105]
	v_add_f64 v[140:141], v[102:103], v[112:113]
	v_add_f64 v[138:139], v[100:101], v[110:111]
	v_add_f64 v[112:113], v[112:113], -v[98:99]
	v_add_f64 v[146:147], v[110:111], -v[96:97]
	v_mul_lo_u16 v148, v92, 18
	v_mul_lo_u16 v149, v93, 18
	;; [unrolled: 1-line block ×3, first 2 shown]
	v_fma_f64 v[114:115], v[114:115], -0.5, v[70:71]
	v_add_lshl_u32 v237, v65, v68, 4
	v_fma_f64 v[116:117], v[116:117], -0.5, v[72:73]
	v_sub_nc_u16 v95, v89, v148
	v_fma_f64 v[118:119], v[118:119], -0.5, v[74:75]
	v_sub_nc_u16 v148, v226, v149
	;; [unrolled: 2-line block ×3, first 2 shown]
	v_fma_f64 v[122:123], v[122:123], -0.5, v[100:101]
	v_add_f64 v[70:71], v[126:127], v[104:105]
	v_fma_f64 v[124:125], v[124:125], -0.5, v[102:103]
	v_add_f64 v[72:73], v[106:107], v[108:109]
	v_add_f64 v[74:75], v[134:135], v[82:83]
	;; [unrolled: 1-line block ×3, first 2 shown]
	v_lshlrev_b16 v67, 5, v95
	v_add_f64 v[80:81], v[140:141], v[98:99]
	v_add_f64 v[78:79], v[138:139], v[96:97]
	v_and_b32_e32 v96, 0xff, v148
	v_and_b32_e32 v97, 0xff, v149
	v_add_lshl_u32 v236, v66, v69, 4
	s_barrier
	buffer_gl0_inv
	v_fma_f64 v[82:83], v[132:133], s[0:1], v[114:115]
	v_fma_f64 v[98:99], v[132:133], s[4:5], v[114:115]
	;; [unrolled: 1-line block ×12, first 2 shown]
	v_and_b32_e32 v86, 0xffff, v67
	v_lshlrev_b32_e32 v64, 5, v96
	v_lshlrev_b32_e32 v87, 5, v97
	ds_write_b128 v237, v[70:73]
	ds_write_b128 v237, v[82:85] offset:96
	ds_write_b128 v237, v[98:101] offset:192
	ds_write_b128 v236, v[74:77]
	ds_write_b128 v236, v[102:105] offset:96
	ds_write_b128 v236, v[106:109] offset:192
	;; [unrolled: 3-line block ×3, first 2 shown]
	s_waitcnt lgkmcnt(0)
	s_barrier
	buffer_gl0_inv
	s_clause 0x1
	global_load_dwordx4 v[68:71], v64, s[2:3] offset:256
	global_load_dwordx4 v[64:67], v64, s[2:3] offset:272
	v_add_co_u32 v80, s12, s2, v86
	v_add_co_ci_u32_e64 v81, null, s3, 0, s12
	s_clause 0x3
	global_load_dwordx4 v[76:79], v87, s[2:3] offset:256
	global_load_dwordx4 v[72:75], v87, s[2:3] offset:272
	global_load_dwordx4 v[84:87], v[80:81], off offset:256
	global_load_dwordx4 v[80:83], v[80:81], off offset:272
	ds_read_b128 v[98:101], v223 offset:6048
	ds_read_b128 v[102:105], v223 offset:12096
	ds_read_b128 v[106:109], v223 offset:8064
	ds_read_b128 v[110:113], v223 offset:14112
	ds_read_b128 v[114:117], v223 offset:10080
	ds_read_b128 v[118:121], v223 offset:16128
	ds_read_b128 v[122:125], v223 offset:4032
	v_mul_u32_u24_sdwa v93, v93, v168 dst_sel:DWORD dst_unused:UNUSED_PAD src0_sel:WORD_0 src1_sel:DWORD
	v_mul_u32_u24_sdwa v94, v94, v168 dst_sel:DWORD dst_unused:UNUSED_PAD src0_sel:WORD_0 src1_sel:DWORD
	v_add_lshl_u32 v242, v93, v96, 4
	v_add_lshl_u32 v240, v94, v97, 4
	s_waitcnt vmcnt(5) lgkmcnt(6)
	v_mul_f64 v[126:127], v[100:101], v[70:71]
	s_waitcnt vmcnt(4) lgkmcnt(5)
	v_mul_f64 v[132:133], v[104:105], v[66:67]
	v_mul_f64 v[134:135], v[98:99], v[70:71]
	v_mul_f64 v[136:137], v[102:103], v[66:67]
	s_waitcnt vmcnt(3) lgkmcnt(4)
	v_mul_f64 v[138:139], v[108:109], v[78:79]
	s_waitcnt vmcnt(2) lgkmcnt(3)
	v_mul_f64 v[140:141], v[112:113], v[74:75]
	v_mul_f64 v[142:143], v[106:107], v[78:79]
	v_mul_f64 v[144:145], v[110:111], v[74:75]
	s_waitcnt vmcnt(1) lgkmcnt(2)
	v_mul_f64 v[146:147], v[116:117], v[86:87]
	s_waitcnt vmcnt(0) lgkmcnt(1)
	v_mul_f64 v[148:149], v[120:121], v[82:83]
	v_mul_f64 v[150:151], v[114:115], v[86:87]
	v_mul_f64 v[152:153], v[118:119], v[82:83]
	v_fma_f64 v[126:127], v[98:99], v[68:69], -v[126:127]
	v_fma_f64 v[132:133], v[102:103], v[64:65], -v[132:133]
	v_fma_f64 v[134:135], v[100:101], v[68:69], v[134:135]
	v_fma_f64 v[136:137], v[104:105], v[64:65], v[136:137]
	v_fma_f64 v[106:107], v[106:107], v[76:77], -v[138:139]
	v_fma_f64 v[110:111], v[110:111], v[72:73], -v[140:141]
	v_fma_f64 v[108:109], v[108:109], v[76:77], v[142:143]
	v_fma_f64 v[112:113], v[112:113], v[72:73], v[144:145]
	v_fma_f64 v[114:115], v[114:115], v[84:85], -v[146:147]
	v_fma_f64 v[118:119], v[118:119], v[80:81], -v[148:149]
	v_fma_f64 v[116:117], v[116:117], v[84:85], v[150:151]
	v_fma_f64 v[120:121], v[120:121], v[80:81], v[152:153]
	v_lshrrev_b16 v138, 1, v89
	v_mov_b32_e32 v139, 0x97b5
	v_mul_lo_u16 v144, v90, 19
	v_mul_lo_u16 v146, v91, 19
	ds_read_b128 v[98:101], v223
	ds_read_b128 v[102:105], v223 offset:2016
	s_waitcnt lgkmcnt(0)
	v_mul_u32_u24_sdwa v142, v138, v139 dst_sel:DWORD dst_unused:UNUSED_PAD src0_sel:WORD_0 src1_sel:DWORD
	v_lshrrev_b16 v188, 10, v144
	v_lshrrev_b16 v189, 10, v146
	s_barrier
	buffer_gl0_inv
	v_add_f64 v[138:139], v[126:127], v[132:133]
	v_lshrrev_b32_e32 v187, 20, v142
	v_add_f64 v[140:141], v[134:135], v[136:137]
	v_add_f64 v[150:151], v[134:135], -v[136:137]
	v_add_f64 v[90:91], v[106:107], v[110:111]
	v_add_f64 v[162:163], v[106:107], -v[110:111]
	v_add_f64 v[142:143], v[108:109], v[112:113]
	v_add_f64 v[156:157], v[122:123], v[114:115]
	;; [unrolled: 1-line block ×5, first 2 shown]
	v_add_f64 v[160:161], v[108:109], -v[112:113]
	v_add_f64 v[148:149], v[98:99], v[126:127]
	v_add_f64 v[134:135], v[100:101], v[134:135]
	;; [unrolled: 1-line block ×4, first 2 shown]
	v_add_f64 v[126:127], v[126:127], -v[132:133]
	v_add_f64 v[164:165], v[116:117], -v[120:121]
	;; [unrolled: 1-line block ×3, first 2 shown]
	v_mul_lo_u16 v169, v187, 54
	v_mul_lo_u16 v170, v188, 54
	;; [unrolled: 1-line block ×3, first 2 shown]
	v_fma_f64 v[138:139], v[138:139], -0.5, v[98:99]
	v_fma_f64 v[140:141], v[140:141], -0.5, v[100:101]
	v_sub_nc_u16 v190, v89, v169
	v_fma_f64 v[90:91], v[90:91], -0.5, v[102:103]
	v_sub_nc_u16 v89, v226, v170
	v_fma_f64 v[142:143], v[142:143], -0.5, v[104:105]
	v_add_f64 v[106:107], v[156:157], v[118:119]
	v_fma_f64 v[144:145], v[144:145], -0.5, v[122:123]
	v_add_f64 v[108:109], v[158:159], v[120:121]
	v_fma_f64 v[146:147], v[146:147], -0.5, v[124:125]
	v_sub_nc_u16 v168, v184, v171
	v_add_f64 v[98:99], v[148:149], v[132:133]
	v_add_f64 v[100:101], v[134:135], v[136:137]
	;; [unrolled: 1-line block ×4, first 2 shown]
	v_and_b32_e32 v191, 0xff, v89
	v_and_b32_e32 v192, 0xff, v168
	v_fma_f64 v[110:111], v[150:151], s[0:1], v[138:139]
	v_fma_f64 v[114:115], v[150:151], s[4:5], v[138:139]
	;; [unrolled: 1-line block ×12, first 2 shown]
	v_mad_u16 v90, v92, 54, v95
	v_lshlrev_b16 v91, 5, v190
	v_lshlrev_b32_sdwa v238, v88, v90 dst_sel:DWORD dst_unused:UNUSED_PAD src0_sel:DWORD src1_sel:WORD_0
	v_and_b32_e32 v89, 0xffff, v91
	v_lshlrev_b32_e32 v90, 5, v191
	v_lshlrev_b32_e32 v91, 5, v192
	ds_write_b128 v242, v[98:101]
	ds_write_b128 v242, v[110:113] offset:288
	ds_write_b128 v242, v[114:117] offset:576
	ds_write_b128 v240, v[102:105]
	ds_write_b128 v240, v[118:121] offset:288
	ds_write_b128 v240, v[122:125] offset:576
	;; [unrolled: 3-line block ×3, first 2 shown]
	s_waitcnt lgkmcnt(0)
	s_barrier
	buffer_gl0_inv
	s_clause 0x1
	global_load_dwordx4 v[108:111], v90, s[2:3] offset:832
	global_load_dwordx4 v[104:107], v90, s[2:3] offset:848
	v_add_co_u32 v89, s12, s2, v89
	v_add_co_ci_u32_e64 v90, null, s3, 0, s12
	s_clause 0x3
	global_load_dwordx4 v[116:119], v91, s[2:3] offset:832
	global_load_dwordx4 v[112:115], v91, s[2:3] offset:848
	global_load_dwordx4 v[124:127], v[89:90], off offset:832
	global_load_dwordx4 v[120:123], v[89:90], off offset:848
	ds_read_b128 v[89:92], v223 offset:6048
	ds_read_b128 v[93:96], v223 offset:12096
	;; [unrolled: 1-line block ×7, first 2 shown]
	v_mov_b32_e32 v103, 0xa2
	s_waitcnt vmcnt(5) lgkmcnt(6)
	v_mul_f64 v[101:102], v[91:92], v[110:111]
	s_waitcnt vmcnt(4) lgkmcnt(5)
	v_mul_f64 v[148:149], v[95:96], v[106:107]
	v_mul_f64 v[150:151], v[89:90], v[110:111]
	v_mul_f64 v[152:153], v[93:94], v[106:107]
	s_waitcnt vmcnt(3) lgkmcnt(4)
	v_mul_f64 v[154:155], v[99:100], v[118:119]
	s_waitcnt vmcnt(2) lgkmcnt(3)
	v_mul_f64 v[156:157], v[134:135], v[114:115]
	v_mul_f64 v[158:159], v[97:98], v[118:119]
	v_mul_f64 v[160:161], v[132:133], v[114:115]
	;; [unrolled: 6-line block ×3, first 2 shown]
	v_fma_f64 v[101:102], v[89:90], v[108:109], -v[101:102]
	v_fma_f64 v[148:149], v[93:94], v[104:105], -v[148:149]
	v_fma_f64 v[150:151], v[91:92], v[108:109], v[150:151]
	v_fma_f64 v[152:153], v[95:96], v[104:105], v[152:153]
	v_fma_f64 v[97:98], v[97:98], v[116:117], -v[154:155]
	v_fma_f64 v[132:133], v[132:133], v[112:113], -v[156:157]
	v_fma_f64 v[99:100], v[99:100], v[116:117], v[158:159]
	v_fma_f64 v[134:135], v[134:135], v[112:113], v[160:161]
	;; [unrolled: 4-line block ×3, first 2 shown]
	ds_read_b128 v[89:92], v223
	ds_read_b128 v[93:96], v223 offset:2016
	s_waitcnt lgkmcnt(0)
	s_barrier
	buffer_gl0_inv
	v_add_f64 v[154:155], v[101:102], v[148:149]
	v_add_f64 v[156:157], v[150:151], v[152:153]
	;; [unrolled: 1-line block ×3, first 2 shown]
	v_add_f64 v[180:181], v[97:98], -v[132:133]
	v_add_f64 v[160:161], v[99:100], v[134:135]
	v_add_f64 v[174:175], v[144:145], v[136:137]
	;; [unrolled: 1-line block ×6, first 2 shown]
	v_add_f64 v[150:151], v[150:151], -v[152:153]
	v_add_f64 v[101:102], v[101:102], -v[148:149]
	v_add_f64 v[176:177], v[146:147], v[138:139]
	v_add_f64 v[170:171], v[93:94], v[97:98]
	;; [unrolled: 1-line block ×3, first 2 shown]
	v_add_f64 v[178:179], v[99:100], -v[134:135]
	v_add_f64 v[182:183], v[138:139], -v[142:143]
	;; [unrolled: 1-line block ×3, first 2 shown]
	v_fma_f64 v[154:155], v[154:155], -0.5, v[89:90]
	v_fma_f64 v[156:157], v[156:157], -0.5, v[91:92]
	;; [unrolled: 1-line block ×4, first 2 shown]
	v_add_f64 v[97:98], v[174:175], v[140:141]
	v_fma_f64 v[162:163], v[162:163], -0.5, v[144:145]
	v_add_f64 v[89:90], v[166:167], v[148:149]
	v_fma_f64 v[164:165], v[164:165], -0.5, v[146:147]
	v_add_f64 v[91:92], v[168:169], v[152:153]
                                        ; implicit-def: $vgpr168_vgpr169
	v_add_f64 v[99:100], v[176:177], v[142:143]
	v_add_f64 v[93:94], v[170:171], v[132:133]
	;; [unrolled: 1-line block ×3, first 2 shown]
                                        ; implicit-def: $vgpr176_vgpr177
                                        ; implicit-def: $vgpr172_vgpr173
	v_fma_f64 v[136:137], v[150:151], s[0:1], v[154:155]
	v_fma_f64 v[140:141], v[150:151], s[4:5], v[154:155]
	;; [unrolled: 1-line block ×12, first 2 shown]
	v_mul_u32_u24_sdwa v101, v188, v103 dst_sel:DWORD dst_unused:UNUSED_PAD src0_sel:WORD_0 src1_sel:DWORD
	v_mul_u32_u24_sdwa v102, v189, v103 dst_sel:DWORD dst_unused:UNUSED_PAD src0_sel:WORD_0 src1_sel:DWORD
	v_mad_u16 v103, 0xa2, v187, v190
	v_cmp_gt_u16_e64 s0, 36, v226
                                        ; implicit-def: $vgpr180_vgpr181
	v_add_lshl_u32 v243, v101, v191, 4
	v_add_lshl_u32 v241, v102, v192, 4
	v_lshlrev_b32_sdwa v239, v88, v103 dst_sel:DWORD dst_unused:UNUSED_PAD src0_sel:DWORD src1_sel:WORD_0
	ds_write_b128 v243, v[89:92]
	ds_write_b128 v243, v[136:139] offset:864
	ds_write_b128 v243, v[140:143] offset:1728
	ds_write_b128 v241, v[93:96]
	ds_write_b128 v241, v[144:147] offset:864
	ds_write_b128 v241, v[148:151] offset:1728
	;; [unrolled: 3-line block ×3, first 2 shown]
	s_waitcnt lgkmcnt(0)
	s_barrier
	buffer_gl0_inv
	ds_read_b128 v[164:167], v223
	ds_read_b128 v[156:159], v223 offset:2592
	ds_read_b128 v[152:155], v223 offset:5184
	;; [unrolled: 1-line block ×6, first 2 shown]
	s_and_saveexec_b32 s1, s0
	s_cbranch_execz .LBB0_9
; %bb.8:
	ds_read_b128 v[160:163], v223 offset:2016
	ds_read_b128 v[132:135], v223 offset:4608
	;; [unrolled: 1-line block ×7, first 2 shown]
.LBB0_9:
	s_or_b32 exec_lo, exec_lo, s1
	v_mad_u64_u32 v[185:186], null, 0x60, v226, s[2:3]
	s_mov_b32 s26, 0x37e14327
	s_mov_b32 s20, 0x36b3c0b5
	;; [unrolled: 1-line block ×6, first 2 shown]
	v_add_co_u32 v148, s1, 0xa00, v185
	v_add_co_ci_u32_e64 v149, s1, 0, v186, s1
	v_add_co_u32 v187, s1, 0x800, v185
	v_add_co_ci_u32_e64 v188, s1, 0, v186, s1
	s_mov_b32 s23, 0xbfe11646
	s_mov_b32 s5, 0x3febfeb5
	s_clause 0x3
	global_load_dwordx4 v[144:147], v[187:188], off offset:512
	global_load_dwordx4 v[136:139], v[148:149], off offset:48
	global_load_dwordx4 v[140:143], v[148:149], off offset:32
	global_load_dwordx4 v[148:151], v[148:149], off offset:16
	s_mov_b32 s24, 0xaaaaaaaa
	s_mov_b32 s14, 0x5476071b
	;; [unrolled: 1-line block ×10, first 2 shown]
	s_waitcnt vmcnt(3) lgkmcnt(5)
	v_mul_f64 v[189:190], v[158:159], v[146:147]
	v_fma_f64 v[189:190], v[156:157], v[144:145], -v[189:190]
	v_mul_f64 v[156:157], v[156:157], v[146:147]
	v_fma_f64 v[191:192], v[158:159], v[144:145], v[156:157]
	s_waitcnt vmcnt(0) lgkmcnt(4)
	v_mul_f64 v[156:157], v[154:155], v[150:151]
	v_fma_f64 v[193:194], v[152:153], v[148:149], -v[156:157]
	v_mul_f64 v[152:153], v[152:153], v[150:151]
	v_fma_f64 v[195:196], v[154:155], v[148:149], v[152:153]
	s_waitcnt lgkmcnt(3)
	v_mul_f64 v[152:153], v[102:103], v[142:143]
	v_fma_f64 v[197:198], v[100:101], v[140:141], -v[152:153]
	v_mul_f64 v[100:101], v[100:101], v[142:143]
	v_fma_f64 v[199:200], v[102:103], v[140:141], v[100:101]
	s_waitcnt lgkmcnt(2)
	v_mul_f64 v[100:101], v[98:99], v[138:139]
	v_fma_f64 v[201:202], v[96:97], v[136:137], -v[100:101]
	v_mul_f64 v[96:97], v[96:97], v[138:139]
	v_fma_f64 v[203:204], v[98:99], v[136:137], v[96:97]
	v_add_co_u32 v96, s1, 0xa40, v185
	v_add_co_ci_u32_e64 v97, s1, 0, v186, s1
	s_clause 0x1
	global_load_dwordx4 v[152:155], v[187:188], off offset:576
	global_load_dwordx4 v[156:159], v[96:97], off offset:16
	s_waitcnt vmcnt(1) lgkmcnt(1)
	v_mul_f64 v[96:97], v[94:95], v[154:155]
	v_fma_f64 v[205:206], v[92:93], v[152:153], -v[96:97]
	v_mul_f64 v[92:93], v[92:93], v[154:155]
	v_fma_f64 v[207:208], v[94:95], v[152:153], v[92:93]
	s_waitcnt vmcnt(0) lgkmcnt(0)
	v_mul_f64 v[92:93], v[90:91], v[158:159]
	v_fma_f64 v[209:210], v[88:89], v[156:157], -v[92:93]
	v_mul_f64 v[88:89], v[88:89], v[158:159]
	v_fma_f64 v[244:245], v[90:91], v[156:157], v[88:89]
	v_subrev_nc_u32_e32 v88, 36, v226
	v_cndmask_b32_e64 v88, v88, v184, s0
	v_mul_hi_i32_i24_e32 v89, 0x60, v88
	v_mul_i32_i24_e32 v88, 0x60, v88
	v_add_co_u32 v188, s1, s2, v88
	v_add_co_ci_u32_e64 v211, s1, s3, v89, s1
	s_mov_b32 s2, 0x37c3f68c
	v_add_co_u32 v100, s1, 0xa00, v188
	v_add_co_ci_u32_e64 v101, s1, 0, v211, s1
	v_add_co_u32 v246, s1, 0x800, v188
	v_add_co_ci_u32_e64 v247, s1, 0, v211, s1
	s_clause 0x3
	global_load_dwordx4 v[96:99], v[246:247], off offset:512
	global_load_dwordx4 v[88:91], v[100:101], off offset:48
	;; [unrolled: 1-line block ×4, first 2 shown]
	s_mov_b32 s3, 0x3fdc38aa
	s_waitcnt vmcnt(3)
	v_mul_f64 v[184:185], v[134:135], v[98:99]
	v_fma_f64 v[219:220], v[132:133], v[96:97], -v[184:185]
	v_mul_f64 v[132:133], v[132:133], v[98:99]
	v_fma_f64 v[221:222], v[134:135], v[96:97], v[132:133]
	s_waitcnt vmcnt(0)
	v_mul_f64 v[132:133], v[130:131], v[102:103]
	v_fma_f64 v[212:213], v[128:129], v[100:101], -v[132:133]
	v_mul_f64 v[128:129], v[128:129], v[102:103]
	v_add_co_u32 v132, s1, 0xa40, v188
	v_add_co_ci_u32_e64 v133, s1, 0, v211, s1
	v_fma_f64 v[214:215], v[130:131], v[100:101], v[128:129]
	v_mul_f64 v[128:129], v[178:179], v[94:95]
	v_fma_f64 v[184:185], v[176:177], v[92:93], -v[128:129]
	v_mul_f64 v[128:129], v[176:177], v[94:95]
	v_fma_f64 v[186:187], v[178:179], v[92:93], v[128:129]
	v_mul_f64 v[128:129], v[182:183], v[90:91]
	v_add_f64 v[178:179], v[189:190], -v[209:210]
	v_fma_f64 v[217:218], v[180:181], v[88:89], -v[128:129]
	v_mul_f64 v[128:129], v[180:181], v[90:91]
	v_fma_f64 v[180:181], v[182:183], v[88:89], v[128:129]
	s_clause 0x1
	global_load_dwordx4 v[128:131], v[246:247], off offset:576
	global_load_dwordx4 v[132:135], v[132:133], off offset:16
	s_waitcnt vmcnt(1)
	v_mul_f64 v[176:177], v[170:171], v[130:131]
	v_fma_f64 v[182:183], v[168:169], v[128:129], -v[176:177]
	v_mul_f64 v[168:169], v[168:169], v[130:131]
	v_add_f64 v[176:177], v[191:192], v[244:245]
	v_fma_f64 v[168:169], v[170:171], v[128:129], v[168:169]
	s_waitcnt vmcnt(0)
	v_mul_f64 v[170:171], v[174:175], v[134:135]
	v_fma_f64 v[170:171], v[172:173], v[132:133], -v[170:171]
	v_mul_f64 v[172:173], v[172:173], v[134:135]
	v_fma_f64 v[172:173], v[174:175], v[132:133], v[172:173]
	v_add_f64 v[174:175], v[189:190], v[209:210]
	v_add_f64 v[188:189], v[191:192], -v[244:245]
	v_add_f64 v[190:191], v[193:194], v[205:206]
	v_add_f64 v[209:210], v[195:196], v[207:208]
	v_add_f64 v[192:193], v[193:194], -v[205:206]
	v_add_f64 v[194:195], v[195:196], -v[207:208]
	v_add_f64 v[205:206], v[197:198], v[201:202]
	v_add_f64 v[207:208], v[199:200], v[203:204]
	v_add_f64 v[196:197], v[201:202], -v[197:198]
	v_add_f64 v[198:199], v[203:204], -v[199:200]
	v_add_f64 v[200:201], v[190:191], v[174:175]
	v_add_f64 v[202:203], v[209:210], v[176:177]
	v_add_f64 v[244:245], v[190:191], -v[174:175]
	v_add_f64 v[246:247], v[209:210], -v[176:177]
	v_add_f64 v[174:175], v[174:175], -v[205:206]
	;; [unrolled: 1-line block ×5, first 2 shown]
	v_add_f64 v[176:177], v[196:197], v[192:193]
	v_add_f64 v[250:251], v[198:199], v[194:195]
	v_add_f64 v[252:253], v[196:197], -v[192:193]
	v_add_f64 v[254:255], v[198:199], -v[194:195]
	;; [unrolled: 1-line block ×6, first 2 shown]
	v_add_f64 v[200:201], v[205:206], v[200:201]
	v_add_f64 v[202:203], v[207:208], v[202:203]
	v_mul_f64 v[206:207], v[209:210], s[20:21]
	v_add_f64 v[204:205], v[176:177], v[178:179]
	v_add_f64 v[188:189], v[250:251], v[188:189]
	v_mul_f64 v[250:251], v[254:255], s[22:23]
	v_mul_f64 v[254:255], v[194:195], s[4:5]
	v_add_f64 v[176:177], v[164:165], v[200:201]
	v_add_f64 v[178:179], v[166:167], v[202:203]
	v_mul_f64 v[164:165], v[174:175], s[26:27]
	v_mul_f64 v[166:167], v[248:249], s[26:27]
	v_mul_f64 v[174:175], v[190:191], s[20:21]
	v_mul_f64 v[248:249], v[252:253], s[22:23]
	v_mul_f64 v[252:253], v[192:193], s[4:5]
	v_fma_f64 v[206:207], v[246:247], s[14:15], -v[206:207]
	v_fma_f64 v[194:195], v[194:195], s[4:5], -v[250:251]
	v_fma_f64 v[200:201], v[200:201], s[24:25], v[176:177]
	v_fma_f64 v[202:203], v[202:203], s[24:25], v[178:179]
	;; [unrolled: 1-line block ×4, first 2 shown]
	v_fma_f64 v[174:175], v[244:245], s[14:15], -v[174:175]
	v_fma_f64 v[164:165], v[244:245], s[16:17], -v[164:165]
	v_fma_f64 v[166:167], v[246:247], s[16:17], -v[166:167]
	v_fma_f64 v[210:211], v[196:197], s[18:19], v[248:249]
	v_fma_f64 v[244:245], v[198:199], s[18:19], v[250:251]
	v_fma_f64 v[192:193], v[192:193], s[4:5], -v[248:249]
	v_fma_f64 v[196:197], v[196:197], s[12:13], -v[252:253]
	;; [unrolled: 1-line block ×3, first 2 shown]
	v_fma_f64 v[194:195], v[188:189], s[2:3], v[194:195]
	v_add_f64 v[248:249], v[206:207], v[202:203]
	v_add_f64 v[190:191], v[190:191], v[200:201]
	;; [unrolled: 1-line block ×6, first 2 shown]
	v_fma_f64 v[250:251], v[204:205], s[2:3], v[210:211]
	v_fma_f64 v[244:245], v[188:189], s[2:3], v[244:245]
	;; [unrolled: 1-line block ×5, first 2 shown]
	v_add_f64 v[200:201], v[174:175], -v[194:195]
	v_add_f64 v[196:197], v[194:195], v[174:175]
	v_add_f64 v[174:175], v[212:213], v[182:183]
	v_add_f64 v[182:183], v[212:213], -v[182:183]
	v_add_f64 v[212:213], v[184:185], v[217:218]
	v_add_f64 v[202:203], v[192:193], v[248:249]
	v_add_f64 v[206:207], v[166:167], -v[252:253]
	v_add_f64 v[204:205], v[188:189], v[164:165]
	v_add_f64 v[198:199], v[248:249], -v[192:193]
	v_add_f64 v[192:193], v[164:165], -v[188:189]
	v_add_f64 v[194:195], v[252:253], v[166:167]
	v_add_f64 v[164:165], v[219:220], v[170:171]
	;; [unrolled: 1-line block ×3, first 2 shown]
	v_add_f64 v[170:171], v[219:220], -v[170:171]
	v_add_f64 v[219:220], v[214:215], v[168:169]
	v_add_f64 v[172:173], v[221:222], -v[172:173]
	v_add_f64 v[168:169], v[214:215], -v[168:169]
	v_add_f64 v[214:215], v[186:187], v[180:181]
	v_add_f64 v[184:185], v[217:218], -v[184:185]
	;; [unrolled: 3-line block ×3, first 2 shown]
	v_add_f64 v[188:189], v[190:191], -v[244:245]
	v_add_f64 v[190:191], v[250:251], v[246:247]
	ds_write_b128 v223, v[176:179]
	ds_write_b128 v223, v[208:211] offset:2592
	ds_write_b128 v223, v[204:207] offset:5184
	;; [unrolled: 1-line block ×6, first 2 shown]
	v_add_f64 v[186:187], v[174:175], v[164:165]
	v_add_f64 v[217:218], v[219:220], v[166:167]
	v_add_f64 v[221:222], v[174:175], -v[164:165]
	v_add_f64 v[244:245], v[219:220], -v[166:167]
	v_add_f64 v[164:165], v[164:165], -v[212:213]
	v_add_f64 v[166:167], v[166:167], -v[214:215]
	v_add_f64 v[174:175], v[212:213], -v[174:175]
	v_add_f64 v[219:220], v[214:215], -v[219:220]
	v_add_f64 v[246:247], v[184:185], v[182:183]
	v_add_f64 v[248:249], v[180:181], v[168:169]
	v_add_f64 v[250:251], v[184:185], -v[182:183]
	v_add_f64 v[252:253], v[180:181], -v[168:169]
	;; [unrolled: 1-line block ×6, first 2 shown]
	v_add_f64 v[186:187], v[212:213], v[186:187]
	v_add_f64 v[217:218], v[214:215], v[217:218]
	;; [unrolled: 1-line block ×4, first 2 shown]
	v_mul_f64 v[246:247], v[250:251], s[22:23]
	v_mul_f64 v[248:249], v[252:253], s[22:23]
	;; [unrolled: 1-line block ×4, first 2 shown]
	v_add_f64 v[212:213], v[160:161], v[186:187]
	v_add_f64 v[214:215], v[162:163], v[217:218]
	v_mul_f64 v[160:161], v[164:165], s[26:27]
	v_mul_f64 v[162:163], v[166:167], s[26:27]
	;; [unrolled: 1-line block ×4, first 2 shown]
	v_fma_f64 v[182:183], v[182:183], s[4:5], -v[246:247]
	v_fma_f64 v[168:169], v[168:169], s[4:5], -v[248:249]
	v_fma_f64 v[186:187], v[186:187], s[24:25], v[212:213]
	v_fma_f64 v[217:218], v[217:218], s[24:25], v[214:215]
	;; [unrolled: 1-line block ×4, first 2 shown]
	v_fma_f64 v[164:165], v[221:222], s[14:15], -v[164:165]
	v_fma_f64 v[166:167], v[244:245], s[14:15], -v[166:167]
	;; [unrolled: 1-line block ×4, first 2 shown]
	v_fma_f64 v[221:222], v[184:185], s[18:19], v[246:247]
	v_fma_f64 v[244:245], v[180:181], s[18:19], v[248:249]
	v_fma_f64 v[184:185], v[184:185], s[12:13], -v[250:251]
	v_fma_f64 v[180:181], v[180:181], s[12:13], -v[252:253]
	v_fma_f64 v[248:249], v[170:171], s[2:3], v[182:183]
	v_fma_f64 v[168:169], v[172:173], s[2:3], v[168:169]
	v_add_f64 v[174:175], v[174:175], v[186:187]
	v_add_f64 v[219:220], v[219:220], v[217:218]
	v_add_f64 v[164:165], v[164:165], v[186:187]
	v_add_f64 v[166:167], v[166:167], v[217:218]
	v_add_f64 v[246:247], v[160:161], v[186:187]
	v_add_f64 v[217:218], v[162:163], v[217:218]
	v_fma_f64 v[221:222], v[170:171], s[2:3], v[221:222]
	v_fma_f64 v[244:245], v[172:173], s[2:3], v[244:245]
	;; [unrolled: 1-line block ×4, first 2 shown]
	v_add_f64 v[160:161], v[164:165], -v[168:169]
	v_add_f64 v[162:163], v[248:249], v[166:167]
	v_add_f64 v[164:165], v[168:169], v[164:165]
	v_add_f64 v[166:167], v[166:167], -v[248:249]
	v_add_f64 v[182:183], v[219:220], -v[221:222]
	v_add_f64 v[180:181], v[244:245], v[174:175]
	v_add_f64 v[186:187], v[217:218], -v[170:171]
	v_add_f64 v[184:185], v[172:173], v[246:247]
	;; [unrolled: 2-line block ×4, first 2 shown]
	s_and_saveexec_b32 s1, s0
	s_cbranch_execz .LBB0_11
; %bb.10:
	ds_write_b128 v223, v[212:215] offset:2016
	ds_write_b128 v223, v[180:183] offset:4608
	;; [unrolled: 1-line block ×7, first 2 shown]
.LBB0_11:
	s_or_b32 exec_lo, exec_lo, s1
	v_add_co_u32 v217, s1, 0x4000, v224
	v_add_co_ci_u32_e64 v218, s1, 0, v225, s1
	s_waitcnt lgkmcnt(0)
	s_barrier
	buffer_gl0_inv
	global_load_dwordx4 v[188:191], v[217:218], off offset:1760
	v_add_co_u32 v176, s1, 0x6800, v224
	v_add_co_ci_u32_e64 v177, s1, 0, v225, s1
	ds_read_b128 v[244:247], v223
	ds_read_b128 v[248:251], v223 offset:9072
	global_load_dwordx4 v[192:195], v[176:177], off offset:592
	v_add_co_u32 v176, s1, 0x46e0, v224
	v_add_co_ci_u32_e64 v177, s1, 0, v225, s1
	v_add_co_u32 v178, s1, 0x7000, v224
	v_add_co_ci_u32_e64 v179, s1, 0, v225, s1
	s_clause 0x1
	global_load_dwordx4 v[196:199], v[176:177], off offset:2016
	global_load_dwordx4 v[200:203], v[178:179], off offset:560
	v_add_co_u32 v178, s1, 0x5000, v224
	v_add_co_ci_u32_e64 v179, s1, 0, v225, s1
	global_load_dwordx4 v[204:207], v[178:179], off offset:1696
	v_add_co_u32 v178, s1, 0x7800, v224
	v_add_co_ci_u32_e64 v179, s1, 0, v225, s1
	;; [unrolled: 3-line block ×4, first 2 shown]
	global_load_dwordx4 v[219:222], v[178:179], off offset:496
	s_waitcnt vmcnt(7) lgkmcnt(1)
	v_mul_f64 v[178:179], v[246:247], v[190:191]
	v_mul_f64 v[190:191], v[244:245], v[190:191]
	v_fma_f64 v[244:245], v[244:245], v[188:189], -v[178:179]
	s_waitcnt vmcnt(6) lgkmcnt(0)
	v_mul_f64 v[178:179], v[250:251], v[194:195]
	v_mul_f64 v[194:195], v[248:249], v[194:195]
	v_fma_f64 v[246:247], v[246:247], v[188:189], v[190:191]
	ds_read_b128 v[188:191], v223 offset:2016
	v_fma_f64 v[248:249], v[248:249], v[192:193], -v[178:179]
	v_fma_f64 v[250:251], v[250:251], v[192:193], v[194:195]
	ds_read_b128 v[192:195], v223 offset:11088
	s_waitcnt vmcnt(5) lgkmcnt(1)
	v_mul_f64 v[178:179], v[190:191], v[198:199]
	v_mul_f64 v[198:199], v[188:189], v[198:199]
	v_fma_f64 v[188:189], v[188:189], v[196:197], -v[178:179]
	s_waitcnt vmcnt(4) lgkmcnt(0)
	v_mul_f64 v[178:179], v[194:195], v[202:203]
	v_mul_f64 v[202:203], v[192:193], v[202:203]
	v_fma_f64 v[190:191], v[190:191], v[196:197], v[198:199]
	ds_read_b128 v[196:199], v223 offset:4032
	v_fma_f64 v[192:193], v[192:193], v[200:201], -v[178:179]
	v_fma_f64 v[194:195], v[194:195], v[200:201], v[202:203]
	ds_read_b128 v[200:203], v223 offset:13104
	;; [unrolled: 12-line block ×3, first 2 shown]
	s_waitcnt vmcnt(1) lgkmcnt(1)
	v_mul_f64 v[178:179], v[206:207], v[214:215]
	v_mul_f64 v[214:215], v[204:205], v[214:215]
	v_fma_f64 v[204:205], v[204:205], v[212:213], -v[178:179]
	v_fma_f64 v[206:207], v[206:207], v[212:213], v[214:215]
	s_waitcnt vmcnt(0) lgkmcnt(0)
	v_mul_f64 v[178:179], v[210:211], v[221:222]
	v_mul_f64 v[212:213], v[208:209], v[221:222]
	v_fma_f64 v[208:209], v[208:209], v[219:220], -v[178:179]
	v_fma_f64 v[210:211], v[210:211], v[219:220], v[212:213]
	ds_write_b128 v223, v[244:247]
	ds_write_b128 v223, v[248:251] offset:9072
	ds_write_b128 v223, v[188:191] offset:2016
	;; [unrolled: 1-line block ×7, first 2 shown]
	s_and_saveexec_b32 s2, vcc_lo
	s_cbranch_execz .LBB0_13
; %bb.12:
	v_add_co_u32 v178, s1, 0x1800, v176
	v_add_co_ci_u32_e64 v179, s1, 0, v177, s1
	v_add_co_u32 v188, s1, 0x4000, v176
	v_add_co_ci_u32_e64 v189, s1, 0, v177, s1
	s_clause 0x1
	global_load_dwordx4 v[176:179], v[178:179], off offset:1920
	global_load_dwordx4 v[188:191], v[188:189], off offset:752
	ds_read_b128 v[192:195], v223 offset:8064
	ds_read_b128 v[196:199], v223 offset:17136
	s_waitcnt vmcnt(1) lgkmcnt(1)
	v_mul_f64 v[200:201], v[194:195], v[178:179]
	v_mul_f64 v[178:179], v[192:193], v[178:179]
	s_waitcnt vmcnt(0) lgkmcnt(0)
	v_mul_f64 v[202:203], v[198:199], v[190:191]
	v_mul_f64 v[204:205], v[196:197], v[190:191]
	v_fma_f64 v[190:191], v[192:193], v[176:177], -v[200:201]
	v_fma_f64 v[192:193], v[194:195], v[176:177], v[178:179]
	v_fma_f64 v[176:177], v[196:197], v[188:189], -v[202:203]
	v_fma_f64 v[178:179], v[198:199], v[188:189], v[204:205]
	ds_write_b128 v223, v[190:193] offset:8064
	ds_write_b128 v223, v[176:179] offset:17136
.LBB0_13:
	s_or_b32 exec_lo, exec_lo, s2
	s_waitcnt lgkmcnt(0)
	s_barrier
	buffer_gl0_inv
	ds_read_b128 v[188:191], v223
	ds_read_b128 v[192:195], v223 offset:2016
	ds_read_b128 v[212:215], v223 offset:9072
	;; [unrolled: 1-line block ×7, first 2 shown]
	v_add_nc_u32_e32 v219, 0x2f40, v231
	s_and_saveexec_b32 s1, vcc_lo
	s_cbranch_execz .LBB0_15
; %bb.14:
	ds_read_b128 v[180:183], v223 offset:8064
	ds_read_b128 v[184:187], v223 offset:17136
.LBB0_15:
	s_or_b32 exec_lo, exec_lo, s1
	s_waitcnt lgkmcnt(0)
	v_add_f64 v[200:201], v[176:177], -v[200:201]
	v_add_f64 v[202:203], v[178:179], -v[202:203]
	;; [unrolled: 1-line block ×8, first 2 shown]
	s_barrier
	buffer_gl0_inv
	v_fma_f64 v[244:245], v[176:177], 2.0, -v[200:201]
	v_fma_f64 v[246:247], v[178:179], 2.0, -v[202:203]
	v_add_f64 v[176:177], v[180:181], -v[184:185]
	v_add_f64 v[178:179], v[182:183], -v[186:187]
	v_fma_f64 v[188:189], v[188:189], 2.0, -v[212:213]
	v_fma_f64 v[190:191], v[190:191], 2.0, -v[214:215]
	;; [unrolled: 1-line block ×6, first 2 shown]
	ds_write_b128 v227, v[212:215] offset:16
	ds_write_b128 v229, v[208:211] offset:16
	;; [unrolled: 1-line block ×3, first 2 shown]
	ds_write_b128 v227, v[188:191]
	ds_write_b128 v229, v[192:195]
	;; [unrolled: 1-line block ×4, first 2 shown]
	ds_write_b128 v219, v[200:203] offset:16
	s_and_saveexec_b32 s1, vcc_lo
	s_cbranch_execz .LBB0_17
; %bb.16:
	v_fma_f64 v[182:183], v[182:183], 2.0, -v[178:179]
	v_fma_f64 v[180:181], v[180:181], 2.0, -v[176:177]
	ds_write_b128 v228, v[180:183]
	ds_write_b128 v228, v[176:179] offset:16
.LBB0_17:
	s_or_b32 exec_lo, exec_lo, s1
	s_waitcnt lgkmcnt(0)
	s_barrier
	buffer_gl0_inv
	ds_read_b128 v[180:183], v223 offset:6048
	ds_read_b128 v[184:187], v223 offset:12096
	;; [unrolled: 1-line block ×7, first 2 shown]
	s_mov_b32 s2, 0xe8584caa
	s_mov_b32 s3, 0xbfebb67a
	;; [unrolled: 1-line block ×4, first 2 shown]
	s_waitcnt lgkmcnt(6)
	v_mul_f64 v[208:209], v[38:39], v[182:183]
	s_waitcnt lgkmcnt(5)
	v_mul_f64 v[210:211], v[34:35], v[186:187]
	v_mul_f64 v[212:213], v[38:39], v[180:181]
	v_mul_f64 v[214:215], v[34:35], v[184:185]
	s_waitcnt lgkmcnt(4)
	v_mul_f64 v[219:220], v[38:39], v[190:191]
	s_waitcnt lgkmcnt(3)
	v_mul_f64 v[221:222], v[34:35], v[194:195]
	v_mul_f64 v[227:228], v[38:39], v[188:189]
	v_mul_f64 v[229:230], v[34:35], v[192:193]
	;; [unrolled: 6-line block ×3, first 2 shown]
	v_fma_f64 v[180:181], v[36:37], v[180:181], v[208:209]
	v_fma_f64 v[184:185], v[32:33], v[184:185], v[210:211]
	v_fma_f64 v[182:183], v[36:37], v[182:183], -v[212:213]
	v_fma_f64 v[186:187], v[32:33], v[186:187], -v[214:215]
	v_fma_f64 v[188:189], v[36:37], v[188:189], v[219:220]
	v_fma_f64 v[192:193], v[32:33], v[192:193], v[221:222]
	v_fma_f64 v[190:191], v[36:37], v[190:191], -v[227:228]
	v_fma_f64 v[194:195], v[32:33], v[194:195], -v[229:230]
	;; [unrolled: 4-line block ×3, first 2 shown]
	ds_read_b128 v[32:35], v223
	ds_read_b128 v[36:39], v223 offset:2016
	s_waitcnt lgkmcnt(0)
	s_barrier
	buffer_gl0_inv
	v_add_f64 v[208:209], v[180:181], v[184:185]
	v_add_f64 v[252:253], v[180:181], -v[184:185]
	v_add_f64 v[229:230], v[182:183], -v[186:187]
	v_add_f64 v[210:211], v[182:183], v[186:187]
	v_add_f64 v[212:213], v[188:189], v[192:193]
	v_add_f64 v[231:232], v[188:189], -v[192:193]
	v_add_f64 v[214:215], v[190:191], v[194:195]
	v_add_f64 v[254:255], v[190:191], -v[194:195]
	v_add_f64 v[227:228], v[32:33], v[180:181]
	v_add_f64 v[244:245], v[36:37], v[188:189]
	;; [unrolled: 1-line block ×8, first 2 shown]
	v_add_f64 v[233:234], v[198:199], -v[202:203]
	v_fma_f64 v[208:209], v[208:209], -0.5, v[32:33]
	v_fma_f64 v[210:211], v[210:211], -0.5, v[34:35]
	;; [unrolled: 1-line block ×4, first 2 shown]
	v_add_f64 v[32:33], v[227:228], v[184:185]
	v_add_f64 v[36:37], v[244:245], v[192:193]
	;; [unrolled: 1-line block ×4, first 2 shown]
	v_fma_f64 v[204:205], v[219:220], -0.5, v[204:205]
	v_add_f64 v[219:220], v[196:197], -v[200:201]
	v_fma_f64 v[206:207], v[221:222], -0.5, v[206:207]
	v_add_f64 v[180:181], v[248:249], v[200:201]
	v_add_f64 v[182:183], v[250:251], v[202:203]
	v_fma_f64 v[184:185], v[229:230], s[2:3], v[208:209]
	v_fma_f64 v[188:189], v[229:230], s[4:5], v[208:209]
	buffer_load_dword v208, off, s[28:31], 0 offset:12 ; 4-byte Folded Reload
	v_fma_f64 v[186:187], v[252:253], s[4:5], v[210:211]
	v_fma_f64 v[190:191], v[252:253], s[2:3], v[210:211]
	;; [unrolled: 1-line block ×6, first 2 shown]
	s_waitcnt vmcnt(0)
	ds_write_b128 v208, v[32:35]
	ds_write_b128 v208, v[184:187] offset:32
	ds_write_b128 v208, v[188:191] offset:64
	ds_write_b128 v216, v[36:39]
	ds_write_b128 v216, v[192:195] offset:32
	ds_write_b128 v216, v[196:199] offset:64
	buffer_load_dword v32, off, s[28:31], 0 offset:8 ; 4-byte Folded Reload
	v_fma_f64 v[200:201], v[233:234], s[2:3], v[204:205]
	v_fma_f64 v[202:203], v[219:220], s[4:5], v[206:207]
	;; [unrolled: 1-line block ×4, first 2 shown]
	s_waitcnt vmcnt(0)
	ds_write_b128 v32, v[180:183]
	ds_write_b128 v32, v[200:203] offset:32
	ds_write_b128 v32, v[204:207] offset:64
	s_waitcnt lgkmcnt(0)
	s_barrier
	buffer_gl0_inv
	ds_read_b128 v[32:35], v223 offset:6048
	ds_read_b128 v[36:39], v223 offset:12096
	;; [unrolled: 1-line block ×7, first 2 shown]
	s_waitcnt lgkmcnt(6)
	v_mul_f64 v[200:201], v[46:47], v[34:35]
	s_waitcnt lgkmcnt(5)
	v_mul_f64 v[202:203], v[42:43], v[38:39]
	v_mul_f64 v[46:47], v[46:47], v[32:33]
	v_mul_f64 v[42:43], v[42:43], v[36:37]
	s_waitcnt lgkmcnt(4)
	v_mul_f64 v[204:205], v[54:55], v[182:183]
	s_waitcnt lgkmcnt(3)
	v_mul_f64 v[206:207], v[50:51], v[186:187]
	v_mul_f64 v[54:55], v[54:55], v[180:181]
	v_mul_f64 v[50:51], v[50:51], v[184:185]
	;; [unrolled: 6-line block ×3, first 2 shown]
	v_fma_f64 v[200:201], v[44:45], v[32:33], v[200:201]
	v_fma_f64 v[202:203], v[40:41], v[36:37], v[202:203]
	v_fma_f64 v[44:45], v[44:45], v[34:35], -v[46:47]
	v_fma_f64 v[40:41], v[40:41], v[38:39], -v[42:43]
	v_fma_f64 v[42:43], v[52:53], v[180:181], v[204:205]
	v_fma_f64 v[46:47], v[48:49], v[184:185], v[206:207]
	v_fma_f64 v[52:53], v[52:53], v[182:183], -v[54:55]
	v_fma_f64 v[48:49], v[48:49], v[186:187], -v[50:51]
	;; [unrolled: 4-line block ×3, first 2 shown]
	ds_read_b128 v[32:35], v223
	ds_read_b128 v[36:39], v223 offset:2016
	s_waitcnt lgkmcnt(0)
	s_barrier
	buffer_gl0_inv
	v_add_f64 v[58:59], v[200:201], v[202:203]
	v_add_f64 v[62:63], v[44:45], v[40:41]
	v_add_f64 v[190:191], v[44:45], -v[40:41]
	v_add_f64 v[180:181], v[42:43], v[46:47]
	v_add_f64 v[210:211], v[42:43], -v[46:47]
	v_add_f64 v[182:183], v[52:53], v[48:49]
	v_add_f64 v[204:205], v[196:197], v[50:51]
	v_add_f64 v[184:185], v[50:51], v[54:55]
	v_add_f64 v[188:189], v[32:33], v[200:201]
	v_add_f64 v[186:187], v[60:61], v[56:57]
	v_add_f64 v[44:45], v[34:35], v[44:45]
	v_add_f64 v[192:193], v[36:37], v[42:43]
	v_add_f64 v[200:201], v[200:201], -v[202:203]
	v_add_f64 v[194:195], v[38:39], v[52:53]
	v_add_f64 v[208:209], v[52:53], -v[48:49]
	v_add_f64 v[206:207], v[198:199], v[60:61]
	v_add_f64 v[212:213], v[60:61], -v[56:57]
	v_fma_f64 v[58:59], v[58:59], -0.5, v[32:33]
	v_fma_f64 v[62:63], v[62:63], -0.5, v[34:35]
	;; [unrolled: 1-line block ×5, first 2 shown]
	v_add_f64 v[196:197], v[50:51], -v[54:55]
	v_fma_f64 v[186:187], v[186:187], -0.5, v[198:199]
	v_add_f64 v[32:33], v[188:189], v[202:203]
	v_add_f64 v[34:35], v[44:45], v[40:41]
	;; [unrolled: 1-line block ×6, first 2 shown]
	v_fma_f64 v[44:45], v[190:191], s[2:3], v[58:59]
	v_fma_f64 v[48:49], v[190:191], s[4:5], v[58:59]
	;; [unrolled: 1-line block ×12, first 2 shown]
	ds_write_b128 v237, v[32:35]
	ds_write_b128 v237, v[44:47] offset:96
	ds_write_b128 v237, v[48:51] offset:192
	ds_write_b128 v236, v[36:39]
	ds_write_b128 v236, v[52:55] offset:96
	ds_write_b128 v236, v[56:59] offset:192
	;; [unrolled: 3-line block ×3, first 2 shown]
	s_waitcnt lgkmcnt(0)
	s_barrier
	buffer_gl0_inv
	ds_read_b128 v[32:35], v223 offset:6048
	ds_read_b128 v[36:39], v223 offset:12096
	;; [unrolled: 1-line block ×7, first 2 shown]
	s_waitcnt lgkmcnt(6)
	v_mul_f64 v[60:61], v[70:71], v[34:35]
	s_waitcnt lgkmcnt(5)
	v_mul_f64 v[62:63], v[66:67], v[38:39]
	v_mul_f64 v[70:71], v[70:71], v[32:33]
	v_mul_f64 v[66:67], v[66:67], v[36:37]
	s_waitcnt lgkmcnt(4)
	v_mul_f64 v[180:181], v[78:79], v[42:43]
	s_waitcnt lgkmcnt(3)
	v_mul_f64 v[182:183], v[74:75], v[46:47]
	v_mul_f64 v[78:79], v[78:79], v[40:41]
	v_mul_f64 v[74:75], v[74:75], v[44:45]
	;; [unrolled: 6-line block ×3, first 2 shown]
	v_fma_f64 v[60:61], v[68:69], v[32:33], v[60:61]
	v_fma_f64 v[62:63], v[64:65], v[36:37], v[62:63]
	v_fma_f64 v[68:69], v[68:69], v[34:35], -v[70:71]
	v_fma_f64 v[64:65], v[64:65], v[38:39], -v[66:67]
	v_fma_f64 v[40:41], v[76:77], v[40:41], v[180:181]
	v_fma_f64 v[44:45], v[72:73], v[44:45], v[182:183]
	v_fma_f64 v[42:43], v[76:77], v[42:43], -v[78:79]
	v_fma_f64 v[46:47], v[72:73], v[46:47], -v[74:75]
	;; [unrolled: 4-line block ×3, first 2 shown]
	ds_read_b128 v[32:35], v223
	ds_read_b128 v[36:39], v223 offset:2016
	s_waitcnt lgkmcnt(0)
	s_barrier
	buffer_gl0_inv
	v_add_f64 v[66:67], v[60:61], v[62:63]
	v_add_f64 v[70:71], v[68:69], v[64:65]
	v_add_f64 v[82:83], v[68:69], -v[64:65]
	v_add_f64 v[72:73], v[40:41], v[44:45]
	v_add_f64 v[186:187], v[40:41], -v[44:45]
	v_add_f64 v[74:75], v[42:43], v[46:47]
	v_add_f64 v[180:181], v[56:57], v[48:49]
	;; [unrolled: 1-line block ×8, first 2 shown]
	v_add_f64 v[60:61], v[60:61], -v[62:63]
	v_add_f64 v[182:183], v[58:59], v[50:51]
	v_add_f64 v[184:185], v[42:43], -v[46:47]
	v_add_f64 v[188:189], v[50:51], -v[54:55]
	;; [unrolled: 1-line block ×3, first 2 shown]
	v_fma_f64 v[66:67], v[66:67], -0.5, v[32:33]
	v_fma_f64 v[70:71], v[70:71], -0.5, v[34:35]
	;; [unrolled: 1-line block ×4, first 2 shown]
	v_add_f64 v[40:41], v[180:181], v[52:53]
	v_fma_f64 v[76:77], v[76:77], -0.5, v[56:57]
	v_add_f64 v[32:33], v[80:81], v[62:63]
	v_fma_f64 v[78:79], v[78:79], -0.5, v[58:59]
	v_add_f64 v[34:35], v[68:69], v[64:65]
	v_add_f64 v[36:37], v[84:85], v[44:45]
	;; [unrolled: 1-line block ×4, first 2 shown]
	v_fma_f64 v[44:45], v[82:83], s[2:3], v[66:67]
	v_fma_f64 v[48:49], v[82:83], s[4:5], v[66:67]
	;; [unrolled: 1-line block ×12, first 2 shown]
	ds_write_b128 v242, v[32:35]
	ds_write_b128 v242, v[44:47] offset:288
	ds_write_b128 v242, v[48:51] offset:576
	ds_write_b128 v240, v[36:39]
	ds_write_b128 v240, v[52:55] offset:288
	ds_write_b128 v240, v[56:59] offset:576
	;; [unrolled: 3-line block ×3, first 2 shown]
	s_waitcnt lgkmcnt(0)
	s_barrier
	buffer_gl0_inv
	ds_read_b128 v[32:35], v223 offset:6048
	ds_read_b128 v[36:39], v223 offset:12096
	;; [unrolled: 1-line block ×7, first 2 shown]
	s_waitcnt lgkmcnt(6)
	v_mul_f64 v[60:61], v[110:111], v[34:35]
	s_waitcnt lgkmcnt(5)
	v_mul_f64 v[62:63], v[106:107], v[38:39]
	v_mul_f64 v[64:65], v[110:111], v[32:33]
	v_mul_f64 v[66:67], v[106:107], v[36:37]
	s_waitcnt lgkmcnt(4)
	v_mul_f64 v[68:69], v[118:119], v[42:43]
	s_waitcnt lgkmcnt(3)
	v_mul_f64 v[70:71], v[114:115], v[46:47]
	v_mul_f64 v[72:73], v[118:119], v[40:41]
	v_mul_f64 v[74:75], v[114:115], v[44:45]
	;; [unrolled: 6-line block ×3, first 2 shown]
	v_fma_f64 v[60:61], v[108:109], v[32:33], v[60:61]
	v_fma_f64 v[62:63], v[104:105], v[36:37], v[62:63]
	v_fma_f64 v[64:65], v[108:109], v[34:35], -v[64:65]
	v_fma_f64 v[66:67], v[104:105], v[38:39], -v[66:67]
	v_fma_f64 v[40:41], v[116:117], v[40:41], v[68:69]
	v_fma_f64 v[44:45], v[112:113], v[44:45], v[70:71]
	v_fma_f64 v[42:43], v[116:117], v[42:43], -v[72:73]
	v_fma_f64 v[46:47], v[112:113], v[46:47], -v[74:75]
	;; [unrolled: 4-line block ×3, first 2 shown]
	ds_read_b128 v[32:35], v223
	ds_read_b128 v[36:39], v223 offset:2016
	s_waitcnt lgkmcnt(0)
	s_barrier
	buffer_gl0_inv
	v_add_f64 v[68:69], v[60:61], v[62:63]
	v_add_f64 v[70:71], v[64:65], v[66:67]
	v_add_f64 v[82:83], v[64:65], -v[66:67]
	v_add_f64 v[72:73], v[40:41], v[44:45]
	v_add_f64 v[74:75], v[42:43], v[46:47]
	;; [unrolled: 1-line block ×8, first 2 shown]
	v_add_f64 v[60:61], v[60:61], -v[62:63]
	v_add_f64 v[84:85], v[36:37], v[40:41]
	v_add_f64 v[86:87], v[38:39], v[42:43]
	v_fma_f64 v[32:33], v[68:69], -0.5, v[32:33]
	v_add_f64 v[68:69], v[42:43], -v[46:47]
	v_fma_f64 v[34:35], v[70:71], -0.5, v[34:35]
	v_add_f64 v[70:71], v[40:41], -v[44:45]
	;; [unrolled: 2-line block ×3, first 2 shown]
	v_fma_f64 v[38:39], v[74:75], -0.5, v[38:39]
	v_fma_f64 v[74:75], v[76:77], -0.5, v[56:57]
	v_add_f64 v[76:77], v[48:49], -v[52:53]
	v_fma_f64 v[78:79], v[78:79], -0.5, v[58:59]
	v_add_f64 v[40:41], v[80:81], v[62:63]
	v_add_f64 v[42:43], v[64:65], v[66:67]
	;; [unrolled: 1-line block ×6, first 2 shown]
	v_fma_f64 v[52:53], v[82:83], s[2:3], v[32:33]
	v_fma_f64 v[56:57], v[82:83], s[4:5], v[32:33]
	;; [unrolled: 1-line block ×12, first 2 shown]
	ds_write_b128 v243, v[40:43]
	ds_write_b128 v243, v[52:55] offset:864
	ds_write_b128 v243, v[56:59] offset:1728
	ds_write_b128 v241, v[44:47]
	ds_write_b128 v241, v[60:63] offset:864
	ds_write_b128 v241, v[64:67] offset:1728
	;; [unrolled: 3-line block ×3, first 2 shown]
	s_waitcnt lgkmcnt(0)
	s_barrier
	buffer_gl0_inv
	ds_read_b128 v[40:43], v223
	ds_read_b128 v[60:63], v223 offset:2592
	ds_read_b128 v[56:59], v223 offset:5184
	;; [unrolled: 1-line block ×6, first 2 shown]
	s_and_saveexec_b32 s1, s0
	s_cbranch_execz .LBB0_19
; %bb.18:
	ds_read_b128 v[32:35], v223 offset:2016
	ds_read_b128 v[36:39], v223 offset:4608
	;; [unrolled: 1-line block ×7, first 2 shown]
.LBB0_19:
	s_or_b32 exec_lo, exec_lo, s1
	s_waitcnt lgkmcnt(5)
	v_mul_f64 v[68:69], v[146:147], v[62:63]
	v_mul_f64 v[70:71], v[146:147], v[60:61]
	s_waitcnt lgkmcnt(4)
	v_mul_f64 v[72:73], v[150:151], v[58:59]
	v_mul_f64 v[74:75], v[150:151], v[56:57]
	;; [unrolled: 3-line block ×3, first 2 shown]
	v_mul_f64 v[80:81], v[154:155], v[54:55]
	v_mul_f64 v[82:83], v[154:155], v[52:53]
	;; [unrolled: 1-line block ×6, first 2 shown]
	s_mov_b32 s12, 0x37e14327
	s_mov_b32 s16, 0xe976ee23
	;; [unrolled: 1-line block ×10, first 2 shown]
	v_fma_f64 v[60:61], v[144:145], v[60:61], v[68:69]
	v_fma_f64 v[62:63], v[144:145], v[62:63], -v[70:71]
	v_fma_f64 v[56:57], v[148:149], v[56:57], v[72:73]
	v_fma_f64 v[58:59], v[148:149], v[58:59], -v[74:75]
	;; [unrolled: 2-line block ×6, first 2 shown]
	s_mov_b32 s15, 0xbff2aaaa
	s_mov_b32 s18, 0x5476071b
	;; [unrolled: 1-line block ×10, first 2 shown]
	v_add_f64 v[68:69], v[60:61], v[64:65]
	v_add_f64 v[70:71], v[62:63], v[66:67]
	;; [unrolled: 1-line block ×4, first 2 shown]
	v_add_f64 v[52:53], v[56:57], -v[52:53]
	v_add_f64 v[54:55], v[58:59], -v[54:55]
	v_add_f64 v[56:57], v[48:49], v[44:45]
	v_add_f64 v[58:59], v[50:51], v[46:47]
	v_add_f64 v[44:45], v[44:45], -v[48:49]
	v_add_f64 v[46:47], v[46:47], -v[50:51]
	;; [unrolled: 1-line block ×4, first 2 shown]
	v_add_f64 v[60:61], v[72:73], v[68:69]
	v_add_f64 v[62:63], v[74:75], v[70:71]
	v_add_f64 v[64:65], v[68:69], -v[56:57]
	v_add_f64 v[66:67], v[70:71], -v[58:59]
	;; [unrolled: 1-line block ×6, first 2 shown]
	v_add_f64 v[52:53], v[44:45], v[52:53]
	v_add_f64 v[54:55], v[46:47], v[54:55]
	v_add_f64 v[44:45], v[48:49], -v[44:45]
	v_add_f64 v[46:47], v[50:51], -v[46:47]
	;; [unrolled: 1-line block ×4, first 2 shown]
	v_add_f64 v[60:61], v[56:57], v[60:61]
	v_add_f64 v[62:63], v[58:59], v[62:63]
	v_add_f64 v[56:57], v[56:57], -v[72:73]
	v_add_f64 v[58:59], v[58:59], -v[74:75]
	v_mul_f64 v[64:65], v[64:65], s[12:13]
	v_mul_f64 v[66:67], v[66:67], s[12:13]
	;; [unrolled: 1-line block ×6, first 2 shown]
	v_add_f64 v[48:49], v[52:53], v[48:49]
	v_add_f64 v[50:51], v[54:55], v[50:51]
	;; [unrolled: 1-line block ×4, first 2 shown]
	v_mul_f64 v[72:73], v[56:57], s[4:5]
	v_mul_f64 v[74:75], v[58:59], s[4:5]
	v_fma_f64 v[52:53], v[56:57], s[4:5], v[64:65]
	v_fma_f64 v[54:55], v[58:59], s[4:5], v[66:67]
	;; [unrolled: 1-line block ×4, first 2 shown]
	v_fma_f64 v[76:77], v[80:81], s[2:3], -v[76:77]
	v_fma_f64 v[78:79], v[82:83], s[2:3], -v[78:79]
	;; [unrolled: 1-line block ×6, first 2 shown]
	v_fma_f64 v[60:61], v[60:61], s[14:15], v[40:41]
	v_fma_f64 v[62:63], v[62:63], s[14:15], v[42:43]
	v_fma_f64 v[68:69], v[68:69], s[18:19], -v[72:73]
	v_fma_f64 v[70:71], v[70:71], s[18:19], -v[74:75]
	v_fma_f64 v[72:73], v[48:49], s[26:27], v[56:57]
	v_fma_f64 v[74:75], v[50:51], s[26:27], v[58:59]
	;; [unrolled: 1-line block ×6, first 2 shown]
	v_add_f64 v[80:81], v[52:53], v[60:61]
	v_add_f64 v[82:83], v[54:55], v[62:63]
	;; [unrolled: 1-line block ×7, first 2 shown]
	v_add_f64 v[46:47], v[82:83], -v[72:73]
	v_add_f64 v[48:49], v[78:79], v[64:65]
	v_add_f64 v[50:51], v[66:67], -v[76:77]
	v_add_f64 v[52:53], v[60:61], -v[56:57]
	v_add_f64 v[54:55], v[58:59], v[62:63]
	v_add_f64 v[56:57], v[56:57], v[60:61]
	v_add_f64 v[58:59], v[62:63], -v[58:59]
	v_add_f64 v[60:61], v[64:65], -v[78:79]
	v_add_f64 v[62:63], v[76:77], v[66:67]
	v_add_f64 v[64:65], v[80:81], -v[74:75]
	v_add_f64 v[66:67], v[72:73], v[82:83]
	ds_write_b128 v223, v[40:43]
	ds_write_b128 v223, v[44:47] offset:2592
	ds_write_b128 v223, v[48:51] offset:5184
	;; [unrolled: 1-line block ×6, first 2 shown]
	s_and_saveexec_b32 s1, s0
	s_cbranch_execz .LBB0_21
; %bb.20:
	v_mul_f64 v[40:41], v[134:135], v[172:173]
	v_mul_f64 v[42:43], v[98:99], v[36:37]
	;; [unrolled: 1-line block ×12, first 2 shown]
	v_fma_f64 v[40:41], v[132:133], v[174:175], -v[40:41]
	v_fma_f64 v[38:39], v[96:97], v[38:39], -v[42:43]
	;; [unrolled: 1-line block ×4, first 2 shown]
	v_fma_f64 v[36:37], v[96:97], v[36:37], v[48:49]
	v_fma_f64 v[46:47], v[132:133], v[172:173], v[50:51]
	;; [unrolled: 1-line block ×6, first 2 shown]
	v_fma_f64 v[56:57], v[92:93], v[162:163], -v[60:61]
	v_fma_f64 v[58:59], v[88:89], v[166:167], -v[62:63]
	v_add_f64 v[60:61], v[38:39], v[40:41]
	v_add_f64 v[38:39], v[38:39], -v[40:41]
	v_add_f64 v[62:63], v[44:45], v[42:43]
	v_add_f64 v[42:43], v[44:45], -v[42:43]
	;; [unrolled: 2-line block ×4, first 2 shown]
	v_add_f64 v[68:69], v[52:53], -v[54:55]
	v_add_f64 v[52:53], v[54:55], v[52:53]
	v_add_f64 v[50:51], v[56:57], v[58:59]
	v_add_f64 v[54:55], v[58:59], -v[56:57]
	v_add_f64 v[46:47], v[62:63], v[60:61]
	v_add_f64 v[74:75], v[42:43], -v[38:39]
	v_add_f64 v[40:41], v[66:67], v[64:65]
	v_add_f64 v[70:71], v[48:49], -v[36:37]
	v_add_f64 v[44:45], v[68:69], -v[48:49]
	v_add_f64 v[58:59], v[64:65], -v[52:53]
	;; [unrolled: 1-line block ×5, first 2 shown]
	v_add_f64 v[48:49], v[68:69], v[48:49]
	v_add_f64 v[42:43], v[54:55], v[42:43]
	v_add_f64 v[54:55], v[38:39], -v[54:55]
	v_add_f64 v[60:61], v[62:63], -v[60:61]
	;; [unrolled: 1-line block ×3, first 2 shown]
	v_add_f64 v[46:47], v[50:51], v[46:47]
	v_add_f64 v[50:51], v[50:51], -v[62:63]
	v_mul_f64 v[78:79], v[74:75], s[2:3]
	v_add_f64 v[40:41], v[52:53], v[40:41]
	v_add_f64 v[52:53], v[52:53], -v[66:67]
	v_mul_f64 v[44:45], v[44:45], s[16:17]
	v_mul_f64 v[58:59], v[58:59], s[12:13]
	;; [unrolled: 1-line block ×5, first 2 shown]
	v_add_f64 v[36:37], v[48:49], v[36:37]
	v_add_f64 v[38:39], v[42:43], v[38:39]
	;; [unrolled: 1-line block ×3, first 2 shown]
	v_mul_f64 v[62:63], v[50:51], s[4:5]
	v_add_f64 v[32:33], v[32:33], v[40:41]
	v_mul_f64 v[66:67], v[52:53], s[4:5]
	v_fma_f64 v[42:43], v[76:77], s[22:23], v[44:45]
	v_fma_f64 v[44:45], v[70:71], s[2:3], -v[44:45]
	v_fma_f64 v[48:49], v[50:51], s[4:5], v[56:57]
	v_fma_f64 v[50:51], v[52:53], s[4:5], v[58:59]
	v_fma_f64 v[52:53], v[76:77], s[24:25], -v[68:69]
	v_fma_f64 v[56:57], v[60:61], s[20:21], -v[56:57]
	;; [unrolled: 1-line block ×4, first 2 shown]
	v_fma_f64 v[46:47], v[46:47], s[14:15], v[34:35]
	v_fma_f64 v[60:61], v[60:61], s[18:19], -v[62:63]
	v_fma_f64 v[62:63], v[54:55], s[22:23], v[72:73]
	v_fma_f64 v[54:55], v[54:55], s[24:25], -v[78:79]
	;; [unrolled: 2-line block ×3, first 2 shown]
	v_fma_f64 v[66:67], v[36:37], s[26:27], v[42:43]
	v_fma_f64 v[52:53], v[36:37], s[26:27], v[52:53]
	;; [unrolled: 1-line block ×4, first 2 shown]
	v_add_f64 v[44:45], v[48:49], v[46:47]
	v_add_f64 v[48:49], v[56:57], v[46:47]
	v_add_f64 v[56:57], v[60:61], v[46:47]
	v_fma_f64 v[60:61], v[38:39], s[26:27], v[62:63]
	v_add_f64 v[70:71], v[50:51], v[40:41]
	v_fma_f64 v[62:63], v[38:39], s[26:27], v[54:55]
	v_add_f64 v[72:73], v[58:59], v[40:41]
	v_add_f64 v[40:41], v[64:65], v[40:41]
	v_add_f64 v[58:59], v[44:45], -v[66:67]
	v_add_f64 v[42:43], v[52:53], v[48:49]
	v_add_f64 v[46:47], v[56:57], -v[36:37]
	v_add_f64 v[50:51], v[36:37], v[56:57]
	v_add_f64 v[56:57], v[60:61], v[70:71]
	v_add_f64 v[54:55], v[48:49], -v[52:53]
	v_add_f64 v[52:53], v[62:63], v[72:73]
	v_add_f64 v[48:49], v[40:41], -v[68:69]
	v_add_f64 v[38:39], v[66:67], v[44:45]
	v_add_f64 v[44:45], v[68:69], v[40:41]
	v_add_f64 v[40:41], v[72:73], -v[62:63]
	v_add_f64 v[36:37], v[70:71], -v[60:61]
	ds_write_b128 v223, v[32:35] offset:2016
	ds_write_b128 v223, v[56:59] offset:4608
	ds_write_b128 v223, v[52:55] offset:7200
	ds_write_b128 v223, v[48:51] offset:9792
	ds_write_b128 v223, v[44:47] offset:12384
	ds_write_b128 v223, v[40:43] offset:14976
	ds_write_b128 v223, v[36:39] offset:17568
.LBB0_21:
	s_or_b32 exec_lo, exec_lo, s1
	s_waitcnt lgkmcnt(0)
	s_barrier
	buffer_gl0_inv
	ds_read_b128 v[32:35], v223
	ds_read_b128 v[36:39], v223 offset:9072
	s_clause 0x1
	buffer_load_dword v40, off, s[28:31], 0
	buffer_load_dword v41, off, s[28:31], 0 offset:4
	v_mad_u64_u32 v[66:67], null, s8, v226, 0
	s_mul_i32 s0, s9, 0x237
	s_mul_hi_u32 s1, s8, 0x237
	s_mov_b32 s2, 0x8eac7900
	s_add_i32 s5, s1, s0
	s_mov_b32 s3, 0x3f4ce55c
	s_mul_i32 s4, s8, 0x237
	s_mul_i32 s1, s9, 0xfffffe47
	s_lshl_b64 s[4:5], s[4:5], 4
	ds_read_b128 v[44:47], v223 offset:11088
	s_waitcnt lgkmcnt(2)
	v_mul_f64 v[68:69], v[2:3], v[34:35]
	v_mul_f64 v[2:3], v[2:3], v[32:33]
	s_waitcnt lgkmcnt(1)
	v_mul_f64 v[70:71], v[22:23], v[38:39]
	v_mul_f64 v[22:23], v[22:23], v[36:37]
	v_fma_f64 v[32:33], v[0:1], v[32:33], v[68:69]
	v_fma_f64 v[2:3], v[0:1], v[34:35], -v[2:3]
	v_fma_f64 v[34:35], v[20:21], v[36:37], v[70:71]
	v_fma_f64 v[20:21], v[20:21], v[38:39], -v[22:23]
	v_mul_f64 v[2:3], v[2:3], s[2:3]
	s_waitcnt vmcnt(1)
	v_mov_b32_e32 v74, v40
	s_waitcnt vmcnt(0)
	ds_read_b128 v[40:43], v223 offset:2016
	ds_read_b128 v[48:51], v223 offset:4032
	;; [unrolled: 1-line block ×5, first 2 shown]
	v_mad_u64_u32 v[64:65], null, s10, v74, 0
	v_mad_u64_u32 v[74:75], null, s11, v74, v[65:66]
	;; [unrolled: 1-line block ×3, first 2 shown]
	s_waitcnt lgkmcnt(5)
	v_mul_f64 v[76:77], v[10:11], v[46:47]
	v_mul_f64 v[10:11], v[10:11], v[44:45]
	s_waitcnt lgkmcnt(4)
	v_mul_f64 v[72:73], v[6:7], v[42:43]
	v_mul_f64 v[6:7], v[6:7], v[40:41]
	;; [unrolled: 3-line block ×3, first 2 shown]
	v_mul_f64 v[14:15], v[14:15], v[48:49]
	v_mul_f64 v[80:81], v[18:19], v[54:55]
	v_mov_b32_e32 v65, v74
	v_mul_f64 v[18:19], v[18:19], v[52:53]
	v_mul_f64 v[22:23], v[26:27], v[58:59]
	;; [unrolled: 1-line block ×4, first 2 shown]
	v_mov_b32_e32 v67, v75
	v_lshlrev_b64 v[0:1], 4, v[64:65]
	v_lshlrev_b64 v[38:39], 4, v[66:67]
	v_add_co_u32 v0, s0, s6, v0
	v_add_co_ci_u32_e64 v1, s0, s7, v1, s0
	v_fma_f64 v[40:41], v[4:5], v[40:41], v[72:73]
	v_fma_f64 v[42:43], v[4:5], v[42:43], -v[6:7]
	v_mul_f64 v[4:5], v[34:35], s[2:3]
	v_fma_f64 v[34:35], v[8:9], v[46:47], -v[10:11]
	v_add_co_u32 v38, s0, v0, v38
	v_add_co_ci_u32_e64 v39, s0, v1, v39, s0
	v_mul_f64 v[6:7], v[20:21], s[2:3]
	v_fma_f64 v[20:21], v[8:9], v[44:45], v[76:77]
	v_fma_f64 v[36:37], v[28:29], v[60:61], v[36:37]
	v_mul_f64 v[0:1], v[32:33], s[2:3]
	v_add_co_u32 v32, s0, v38, s4
	v_fma_f64 v[44:45], v[12:13], v[50:51], -v[14:15]
	v_fma_f64 v[46:47], v[16:17], v[52:53], v[80:81]
	v_add_co_ci_u32_e64 v33, s0, s5, v39, s0
	v_fma_f64 v[50:51], v[24:25], v[56:57], v[22:23]
	v_fma_f64 v[26:27], v[24:25], v[58:59], -v[26:27]
	s_mul_hi_u32 s0, s8, 0xfffffe47
	v_fma_f64 v[30:31], v[28:29], v[62:63], -v[30:31]
	v_mul_f64 v[8:9], v[40:41], s[2:3]
	v_fma_f64 v[40:41], v[12:13], v[48:49], v[78:79]
	v_fma_f64 v[48:49], v[16:17], v[54:55], -v[18:19]
	s_sub_i32 s0, s0, s8
	v_mul_f64 v[10:11], v[42:43], s[2:3]
	s_add_i32 s1, s0, s1
	s_mul_i32 s0, s8, 0xfffffe47
	v_mul_f64 v[14:15], v[34:35], s[2:3]
	s_lshl_b64 s[6:7], s[0:1], 4
	v_mul_f64 v[12:13], v[20:21], s[2:3]
	v_add_co_u32 v42, s0, v32, s6
	v_add_co_ci_u32_e64 v43, s0, s7, v33, s0
	v_mul_f64 v[28:29], v[36:37], s[2:3]
	v_add_co_u32 v34, s0, v42, s4
	v_add_co_ci_u32_e64 v35, s0, s5, v43, s0
	v_mul_f64 v[18:19], v[44:45], s[2:3]
	v_add_co_u32 v36, s0, v34, s6
	v_mul_f64 v[20:21], v[46:47], s[2:3]
	v_mul_f64 v[16:17], v[40:41], s[2:3]
	v_mul_f64 v[22:23], v[48:49], s[2:3]
	v_add_co_ci_u32_e64 v37, s0, s7, v35, s0
	v_mul_f64 v[24:25], v[50:51], s[2:3]
	v_mul_f64 v[26:27], v[26:27], s[2:3]
	;; [unrolled: 1-line block ×3, first 2 shown]
	global_store_dwordx4 v[38:39], v[0:3], off
	v_add_co_u32 v2, s0, v36, s4
	v_add_co_ci_u32_e64 v3, s0, s5, v37, s0
	global_store_dwordx4 v[32:33], v[4:7], off
	v_add_co_u32 v4, s0, v2, s6
	v_add_co_ci_u32_e64 v5, s0, s7, v3, s0
	;; [unrolled: 3-line block ×3, first 2 shown]
	global_store_dwordx4 v[34:35], v[12:15], off
	global_store_dwordx4 v[36:37], v[16:19], off
	global_store_dwordx4 v[2:3], v[20:23], off
	global_store_dwordx4 v[4:5], v[24:27], off
	global_store_dwordx4 v[0:1], v[28:31], off
	s_and_b32 exec_lo, exec_lo, vcc_lo
	s_cbranch_execz .LBB0_23
; %bb.22:
	v_add_co_u32 v2, vcc_lo, 0x1800, v224
	v_add_co_ci_u32_e32 v3, vcc_lo, 0, v225, vcc_lo
	v_add_co_u32 v0, vcc_lo, v0, s6
	v_add_co_ci_u32_e32 v1, vcc_lo, s7, v1, vcc_lo
	s_clause 0x1
	global_load_dwordx4 v[2:5], v[2:3], off offset:1920
	global_load_dwordx4 v[6:9], v[217:218], off offset:752
	ds_read_b128 v[10:13], v223 offset:8064
	ds_read_b128 v[14:17], v223 offset:17136
	s_waitcnt vmcnt(1) lgkmcnt(1)
	v_mul_f64 v[18:19], v[12:13], v[4:5]
	v_mul_f64 v[4:5], v[10:11], v[4:5]
	s_waitcnt vmcnt(0) lgkmcnt(0)
	v_mul_f64 v[20:21], v[16:17], v[8:9]
	v_mul_f64 v[8:9], v[14:15], v[8:9]
	v_fma_f64 v[10:11], v[10:11], v[2:3], v[18:19]
	v_fma_f64 v[4:5], v[2:3], v[12:13], -v[4:5]
	v_fma_f64 v[12:13], v[14:15], v[6:7], v[20:21]
	v_fma_f64 v[8:9], v[6:7], v[16:17], -v[8:9]
	v_mul_f64 v[2:3], v[10:11], s[2:3]
	v_mul_f64 v[4:5], v[4:5], s[2:3]
	;; [unrolled: 1-line block ×4, first 2 shown]
	v_add_co_u32 v10, vcc_lo, v0, s4
	v_add_co_ci_u32_e32 v11, vcc_lo, s5, v1, vcc_lo
	global_store_dwordx4 v[0:1], v[2:5], off
	global_store_dwordx4 v[10:11], v[6:9], off
.LBB0_23:
	s_endpgm
	.section	.rodata,"a",@progbits
	.p2align	6, 0x0
	.amdhsa_kernel bluestein_single_fwd_len1134_dim1_dp_op_CI_CI
		.amdhsa_group_segment_fixed_size 18144
		.amdhsa_private_segment_fixed_size 20
		.amdhsa_kernarg_size 104
		.amdhsa_user_sgpr_count 6
		.amdhsa_user_sgpr_private_segment_buffer 1
		.amdhsa_user_sgpr_dispatch_ptr 0
		.amdhsa_user_sgpr_queue_ptr 0
		.amdhsa_user_sgpr_kernarg_segment_ptr 1
		.amdhsa_user_sgpr_dispatch_id 0
		.amdhsa_user_sgpr_flat_scratch_init 0
		.amdhsa_user_sgpr_private_segment_size 0
		.amdhsa_wavefront_size32 1
		.amdhsa_uses_dynamic_stack 0
		.amdhsa_system_sgpr_private_segment_wavefront_offset 1
		.amdhsa_system_sgpr_workgroup_id_x 1
		.amdhsa_system_sgpr_workgroup_id_y 0
		.amdhsa_system_sgpr_workgroup_id_z 0
		.amdhsa_system_sgpr_workgroup_info 0
		.amdhsa_system_vgpr_workitem_id 0
		.amdhsa_next_free_vgpr 256
		.amdhsa_next_free_sgpr 32
		.amdhsa_reserve_vcc 1
		.amdhsa_reserve_flat_scratch 0
		.amdhsa_float_round_mode_32 0
		.amdhsa_float_round_mode_16_64 0
		.amdhsa_float_denorm_mode_32 3
		.amdhsa_float_denorm_mode_16_64 3
		.amdhsa_dx10_clamp 1
		.amdhsa_ieee_mode 1
		.amdhsa_fp16_overflow 0
		.amdhsa_workgroup_processor_mode 1
		.amdhsa_memory_ordered 1
		.amdhsa_forward_progress 0
		.amdhsa_shared_vgpr_count 0
		.amdhsa_exception_fp_ieee_invalid_op 0
		.amdhsa_exception_fp_denorm_src 0
		.amdhsa_exception_fp_ieee_div_zero 0
		.amdhsa_exception_fp_ieee_overflow 0
		.amdhsa_exception_fp_ieee_underflow 0
		.amdhsa_exception_fp_ieee_inexact 0
		.amdhsa_exception_int_div_zero 0
	.end_amdhsa_kernel
	.text
.Lfunc_end0:
	.size	bluestein_single_fwd_len1134_dim1_dp_op_CI_CI, .Lfunc_end0-bluestein_single_fwd_len1134_dim1_dp_op_CI_CI
                                        ; -- End function
	.section	.AMDGPU.csdata,"",@progbits
; Kernel info:
; codeLenInByte = 15312
; NumSgprs: 34
; NumVgprs: 256
; ScratchSize: 20
; MemoryBound: 0
; FloatMode: 240
; IeeeMode: 1
; LDSByteSize: 18144 bytes/workgroup (compile time only)
; SGPRBlocks: 4
; VGPRBlocks: 31
; NumSGPRsForWavesPerEU: 34
; NumVGPRsForWavesPerEU: 256
; Occupancy: 4
; WaveLimiterHint : 1
; COMPUTE_PGM_RSRC2:SCRATCH_EN: 1
; COMPUTE_PGM_RSRC2:USER_SGPR: 6
; COMPUTE_PGM_RSRC2:TRAP_HANDLER: 0
; COMPUTE_PGM_RSRC2:TGID_X_EN: 1
; COMPUTE_PGM_RSRC2:TGID_Y_EN: 0
; COMPUTE_PGM_RSRC2:TGID_Z_EN: 0
; COMPUTE_PGM_RSRC2:TIDIG_COMP_CNT: 0
	.text
	.p2alignl 6, 3214868480
	.fill 48, 4, 3214868480
	.type	__hip_cuid_ce98f682494be6ae,@object ; @__hip_cuid_ce98f682494be6ae
	.section	.bss,"aw",@nobits
	.globl	__hip_cuid_ce98f682494be6ae
__hip_cuid_ce98f682494be6ae:
	.byte	0                               ; 0x0
	.size	__hip_cuid_ce98f682494be6ae, 1

	.ident	"AMD clang version 19.0.0git (https://github.com/RadeonOpenCompute/llvm-project roc-6.4.0 25133 c7fe45cf4b819c5991fe208aaa96edf142730f1d)"
	.section	".note.GNU-stack","",@progbits
	.addrsig
	.addrsig_sym __hip_cuid_ce98f682494be6ae
	.amdgpu_metadata
---
amdhsa.kernels:
  - .args:
      - .actual_access:  read_only
        .address_space:  global
        .offset:         0
        .size:           8
        .value_kind:     global_buffer
      - .actual_access:  read_only
        .address_space:  global
        .offset:         8
        .size:           8
        .value_kind:     global_buffer
      - .actual_access:  read_only
        .address_space:  global
        .offset:         16
        .size:           8
        .value_kind:     global_buffer
      - .actual_access:  read_only
        .address_space:  global
        .offset:         24
        .size:           8
        .value_kind:     global_buffer
      - .actual_access:  read_only
        .address_space:  global
        .offset:         32
        .size:           8
        .value_kind:     global_buffer
      - .offset:         40
        .size:           8
        .value_kind:     by_value
      - .address_space:  global
        .offset:         48
        .size:           8
        .value_kind:     global_buffer
      - .address_space:  global
        .offset:         56
        .size:           8
        .value_kind:     global_buffer
      - .address_space:  global
        .offset:         64
        .size:           8
        .value_kind:     global_buffer
      - .address_space:  global
        .offset:         72
        .size:           8
        .value_kind:     global_buffer
      - .offset:         80
        .size:           4
        .value_kind:     by_value
      - .address_space:  global
        .offset:         88
        .size:           8
        .value_kind:     global_buffer
      - .address_space:  global
        .offset:         96
        .size:           8
        .value_kind:     global_buffer
    .group_segment_fixed_size: 18144
    .kernarg_segment_align: 8
    .kernarg_segment_size: 104
    .language:       OpenCL C
    .language_version:
      - 2
      - 0
    .max_flat_workgroup_size: 126
    .name:           bluestein_single_fwd_len1134_dim1_dp_op_CI_CI
    .private_segment_fixed_size: 20
    .sgpr_count:     34
    .sgpr_spill_count: 0
    .symbol:         bluestein_single_fwd_len1134_dim1_dp_op_CI_CI.kd
    .uniform_work_group_size: 1
    .uses_dynamic_stack: false
    .vgpr_count:     256
    .vgpr_spill_count: 4
    .wavefront_size: 32
    .workgroup_processor_mode: 1
amdhsa.target:   amdgcn-amd-amdhsa--gfx1030
amdhsa.version:
  - 1
  - 2
...

	.end_amdgpu_metadata
